;; amdgpu-corpus repo=ROCm/rocFFT kind=compiled arch=gfx950 opt=O3
	.text
	.amdgcn_target "amdgcn-amd-amdhsa--gfx950"
	.amdhsa_code_object_version 6
	.protected	bluestein_single_back_len320_dim1_dp_op_CI_CI ; -- Begin function bluestein_single_back_len320_dim1_dp_op_CI_CI
	.globl	bluestein_single_back_len320_dim1_dp_op_CI_CI
	.p2align	8
	.type	bluestein_single_back_len320_dim1_dp_op_CI_CI,@function
bluestein_single_back_len320_dim1_dp_op_CI_CI: ; @bluestein_single_back_len320_dim1_dp_op_CI_CI
; %bb.0:
	s_load_dwordx4 s[12:15], s[0:1], 0x28
	v_lshrrev_b32_e32 v1, 4, v0
	v_lshl_or_b32 v242, s2, 2, v1
	v_mov_b32_e32 v243, 0
	s_waitcnt lgkmcnt(0)
	v_cmp_gt_u64_e32 vcc, s[12:13], v[242:243]
	s_and_saveexec_b64 s[2:3], vcc
	s_cbranch_execz .LBB0_2
; %bb.1:
	s_load_dwordx4 s[4:7], s[0:1], 0x0
	s_load_dwordx4 s[8:11], s[0:1], 0x18
	s_load_dwordx2 s[2:3], s[0:1], 0x38
	v_and_b32_e32 v109, 15, v0
	v_mov_b32_e32 v2, s14
	v_mov_b32_e32 v3, s15
	v_mul_u32_u24_e32 v234, 0x140, v1
	s_waitcnt lgkmcnt(0)
	v_mov_b32_e32 v4, s2
	v_mov_b32_e32 v5, s3
	s_load_dwordx4 s[0:3], s[10:11], 0x0
	v_accvgpr_write_b32 a0, v4
	v_accvgpr_write_b32 a1, v5
	v_or_b32_e32 v1, v234, v109
	v_lshlrev_b32_e32 v107, 4, v1
	s_waitcnt lgkmcnt(0)
	v_mad_u64_u32 v[6:7], s[10:11], s2, v242, 0
	s_load_dwordx4 s[8:11], s[8:9], 0x0
	v_mov_b32_e32 v4, v7
	v_mad_u64_u32 v[4:5], s[2:3], s3, v242, v[4:5]
	v_mov_b32_e32 v7, v4
	v_accvgpr_write_b32 a2, v6
	s_waitcnt lgkmcnt(0)
	v_mad_u64_u32 v[4:5], s[2:3], s10, v242, 0
	v_accvgpr_write_b32 a3, v7
	v_mov_b32_e32 v6, v5
	v_mad_u64_u32 v[6:7], s[2:3], s11, v242, v[6:7]
	v_mov_b32_e32 v5, v6
	v_mad_u64_u32 v[6:7], s[2:3], s8, v109, 0
	v_mov_b32_e32 v8, v7
	v_mad_u64_u32 v[8:9], s[2:3], s9, v109, v[8:9]
	v_mov_b32_e32 v7, v8
	v_lshl_add_u64 v[2:3], v[4:5], 4, v[2:3]
	v_lshl_add_u64 v[10:11], v[6:7], 4, v[2:3]
	v_lshlrev_b32_e32 v242, 4, v109
	global_load_dwordx4 v[2:5], v[10:11], off
	global_load_dwordx4 v[12:15], v242, s[4:5]
	s_add_u32 s10, s4, 0x1400
	s_addc_u32 s11, s5, 0
	s_lshl_b64 s[2:3], s[8:9], 9
	v_lshl_add_u64 v[10:11], v[10:11], 0, s[2:3]
	v_lshl_or_b32 v106, v234, 4, v242
	v_or_b32_e32 v246, 0x1000, v242
	v_or_b32_e32 v247, 0x1200, v242
	s_mulk_i32 s9, 0xef00
	v_or_b32_e32 v245, 0x1100, v242
	v_or_b32_e32 v244, 0x1300, v242
	s_mov_b32 s15, 0xbfe2cf23
	s_mov_b32 s20, 0x9b97f4a8
	;; [unrolled: 1-line block ×6, first 2 shown]
	v_cmp_gt_u32_e32 vcc, 10, v109
	v_or_b32_e32 v1, 16, v109
	v_or_b32_e32 v214, 32, v109
	;; [unrolled: 1-line block ×3, first 2 shown]
	v_mad_u64_u32 v[198:199], s[24:25], v109, 48, s[6:7]
	v_mov_b32_e32 v215, v243
	s_movk_i32 s22, 0x1000
	s_waitcnt vmcnt(0)
	v_accvgpr_write_b32 a8, v12
	v_mul_f64 v[6:7], v[4:5], v[14:15]
	v_fmac_f64_e32 v[6:7], v[2:3], v[12:13]
	v_mul_f64 v[2:3], v[2:3], v[14:15]
	v_fma_f64 v[8:9], v[4:5], v[12:13], -v[2:3]
	ds_write_b128 v107, v[6:9]
	v_accvgpr_write_b32 a9, v13
	v_accvgpr_write_b32 a10, v14
	v_accvgpr_write_b32 a11, v15
	global_load_dwordx4 v[2:5], v[10:11], off
	global_load_dwordx4 v[12:15], v242, s[4:5] offset:512
	v_lshl_add_u64 v[10:11], v[10:11], 0, s[2:3]
	s_waitcnt vmcnt(0)
	v_mul_f64 v[6:7], v[4:5], v[14:15]
	v_fmac_f64_e32 v[6:7], v[2:3], v[12:13]
	v_mul_f64 v[2:3], v[2:3], v[14:15]
	v_fma_f64 v[8:9], v[4:5], v[12:13], -v[2:3]
	v_accvgpr_write_b32 a31, v15
	ds_write_b128 v107, v[6:9] offset:512
	v_accvgpr_write_b32 a30, v14
	v_accvgpr_write_b32 a29, v13
	v_accvgpr_write_b32 a28, v12
	global_load_dwordx4 v[2:5], v[10:11], off
	global_load_dwordx4 v[12:15], v242, s[4:5] offset:1024
	v_lshl_add_u64 v[10:11], v[10:11], 0, s[2:3]
	s_waitcnt vmcnt(0)
	v_mul_f64 v[6:7], v[4:5], v[14:15]
	v_fmac_f64_e32 v[6:7], v[2:3], v[12:13]
	v_mul_f64 v[2:3], v[2:3], v[14:15]
	v_fma_f64 v[8:9], v[4:5], v[12:13], -v[2:3]
	v_accvgpr_write_b32 a39, v15
	ds_write_b128 v106, v[6:9] offset:1024
	;; [unrolled: 13-line block ×6, first 2 shown]
	v_accvgpr_write_b32 a70, v14
	v_accvgpr_write_b32 a69, v13
	;; [unrolled: 1-line block ×3, first 2 shown]
	global_load_dwordx4 v[2:5], v[10:11], off
	global_load_dwordx4 v[12:15], v242, s[4:5] offset:3584
	v_lshl_add_u64 v[10:11], v[10:11], 0, s[2:3]
	s_waitcnt vmcnt(0)
	v_mul_f64 v[6:7], v[4:5], v[14:15]
	v_fmac_f64_e32 v[6:7], v[2:3], v[12:13]
	v_mul_f64 v[2:3], v[2:3], v[14:15]
	v_accvgpr_write_b32 a67, v15
	v_fma_f64 v[8:9], v[4:5], v[12:13], -v[2:3]
	v_accvgpr_write_b32 a66, v14
	v_accvgpr_write_b32 a65, v13
	v_accvgpr_write_b32 a64, v12
	global_load_dwordx4 v[2:5], v[10:11], off
	global_load_dwordx4 v[12:15], v246, s[4:5]
	ds_write_b128 v106, v[6:9] offset:3584
	v_lshl_add_u64 v[10:11], v[10:11], 0, s[2:3]
	s_waitcnt vmcnt(0)
	v_mul_f64 v[6:7], v[4:5], v[14:15]
	v_fmac_f64_e32 v[6:7], v[2:3], v[12:13]
	v_mul_f64 v[2:3], v[2:3], v[14:15]
	v_accvgpr_write_b32 a75, v15
	v_fma_f64 v[8:9], v[4:5], v[12:13], -v[2:3]
	v_accvgpr_write_b32 a74, v14
	v_accvgpr_write_b32 a73, v13
	;; [unrolled: 1-line block ×3, first 2 shown]
	global_load_dwordx4 v[2:5], v[10:11], off
	global_load_dwordx4 v[12:15], v247, s[4:5]
	ds_write_b128 v106, v[6:9] offset:4096
	s_waitcnt vmcnt(0)
	v_mul_f64 v[6:7], v[4:5], v[14:15]
	v_fmac_f64_e32 v[6:7], v[2:3], v[12:13]
	v_mul_f64 v[2:3], v[2:3], v[14:15]
	v_fma_f64 v[8:9], v[4:5], v[12:13], -v[2:3]
	v_mov_b32_e32 v2, 0xffffef00
	v_mad_u64_u32 v[10:11], s[12:13], s8, v2, v[10:11]
	s_sub_i32 s8, s9, s8
	v_accvgpr_write_b32 a79, v15
	ds_write_b128 v106, v[6:9] offset:4608
	v_add_u32_e32 v11, s8, v11
	v_accvgpr_write_b32 a78, v14
	v_accvgpr_write_b32 a77, v13
	;; [unrolled: 1-line block ×3, first 2 shown]
	global_load_dwordx4 v[2:5], v[10:11], off
	global_load_dwordx4 v[12:15], v242, s[4:5] offset:256
	v_lshl_add_u64 v[10:11], v[10:11], 0, s[2:3]
	s_mov_b32 s13, 0xbfee6f0e
	s_mov_b32 s8, 0x372fe950
	;; [unrolled: 1-line block ×4, first 2 shown]
	s_waitcnt vmcnt(0)
	v_mul_f64 v[6:7], v[4:5], v[14:15]
	v_fmac_f64_e32 v[6:7], v[2:3], v[12:13]
	v_mul_f64 v[2:3], v[2:3], v[14:15]
	v_fma_f64 v[8:9], v[4:5], v[12:13], -v[2:3]
	v_accvgpr_write_b32 a35, v15
	ds_write_b128 v107, v[6:9] offset:256
	v_accvgpr_write_b32 a34, v14
	v_accvgpr_write_b32 a33, v13
	v_accvgpr_write_b32 a32, v12
	global_load_dwordx4 v[2:5], v[10:11], off
	global_load_dwordx4 v[12:15], v242, s[4:5] offset:768
	v_lshl_add_u64 v[10:11], v[10:11], 0, s[2:3]
	s_waitcnt vmcnt(0)
	v_mul_f64 v[6:7], v[4:5], v[14:15]
	v_fmac_f64_e32 v[6:7], v[2:3], v[12:13]
	v_mul_f64 v[2:3], v[2:3], v[14:15]
	v_fma_f64 v[8:9], v[4:5], v[12:13], -v[2:3]
	v_accvgpr_write_b32 a27, v15
	ds_write_b128 v107, v[6:9] offset:768
	v_accvgpr_write_b32 a26, v14
	v_accvgpr_write_b32 a25, v13
	v_accvgpr_write_b32 a24, v12
	global_load_dwordx4 v[2:5], v[10:11], off
	global_load_dwordx4 v[12:15], v242, s[4:5] offset:1280
	v_lshl_add_u64 v[10:11], v[10:11], 0, s[2:3]
	;; [unrolled: 13-line block ×7, first 2 shown]
	s_waitcnt vmcnt(0)
	v_mul_f64 v[6:7], v[4:5], v[14:15]
	v_fmac_f64_e32 v[6:7], v[2:3], v[12:13]
	v_mul_f64 v[2:3], v[2:3], v[14:15]
	v_accvgpr_write_b32 a12, v12
	v_fma_f64 v[8:9], v[4:5], v[12:13], -v[2:3]
	v_accvgpr_write_b32 a13, v13
	v_accvgpr_write_b32 a14, v14
	;; [unrolled: 1-line block ×3, first 2 shown]
	global_load_dwordx4 v[2:5], v[10:11], off
	global_load_dwordx4 v[12:15], v245, s[4:5]
	ds_write_b128 v106, v[6:9] offset:3840
	s_waitcnt vmcnt(0)
	v_mul_f64 v[6:7], v[4:5], v[14:15]
	v_fmac_f64_e32 v[6:7], v[2:3], v[12:13]
	v_mul_f64 v[2:3], v[2:3], v[14:15]
	v_fma_f64 v[8:9], v[4:5], v[12:13], -v[2:3]
	ds_write_b128 v106, v[6:9] offset:4352
	v_lshl_add_u64 v[2:3], v[10:11], 0, s[2:3]
	global_load_dwordx4 v[6:9], v244, s[4:5]
	v_accvgpr_write_b32 a4, v12
	global_load_dwordx4 v[2:5], v[2:3], off
	v_accvgpr_write_b32 a5, v13
	v_accvgpr_write_b32 a6, v14
	;; [unrolled: 1-line block ×3, first 2 shown]
	s_mov_b32 s4, 0x134454ff
	s_mov_b32 s5, 0x3fee6f0e
	;; [unrolled: 1-line block ×6, first 2 shown]
	s_waitcnt vmcnt(1)
	v_mov_b64_e32 v[10:11], v[8:9]
	v_mov_b64_e32 v[8:9], v[6:7]
	s_waitcnt vmcnt(0)
	v_mul_f64 v[6:7], v[4:5], v[10:11]
	v_fmac_f64_e32 v[6:7], v[2:3], v[8:9]
	v_mul_f64 v[2:3], v[2:3], v[10:11]
	v_mov_b64_e32 v[12:13], v[10:11]
	v_mov_b64_e32 v[10:11], v[8:9]
	v_fma_f64 v[8:9], v[4:5], v[10:11], -v[2:3]
	v_accvgpr_write_b32 a23, v13
	v_accvgpr_write_b32 a22, v12
	v_accvgpr_write_b32 a21, v11
	v_accvgpr_write_b32 a20, v10
	ds_write_b128 v106, v[6:9] offset:4864
	s_waitcnt lgkmcnt(0)
	; wave barrier
	s_waitcnt lgkmcnt(0)
	ds_read_b128 v[14:17], v107
	ds_read_b128 v[26:29], v107 offset:512
	ds_read_b128 v[66:69], v106 offset:1024
	;; [unrolled: 1-line block ×19, first 2 shown]
	s_waitcnt lgkmcnt(13)
	v_add_f64 v[72:73], v[82:83], v[86:87]
	v_fma_f64 v[72:73], -0.5, v[72:73], v[14:15]
	s_waitcnt lgkmcnt(11)
	v_add_f64 v[74:75], v[68:69], -v[92:93]
	v_fma_f64 v[76:77], s[4:5], v[74:75], v[72:73]
	v_add_f64 v[78:79], v[84:85], -v[88:89]
	v_add_f64 v[80:81], v[66:67], -v[82:83]
	;; [unrolled: 1-line block ×3, first 2 shown]
	v_fmac_f64_e32 v[72:73], s[12:13], v[74:75]
	v_fmac_f64_e32 v[76:77], s[2:3], v[78:79]
	v_add_f64 v[80:81], v[80:81], v[94:95]
	v_fmac_f64_e32 v[72:73], s[14:15], v[78:79]
	v_fmac_f64_e32 v[76:77], s[8:9], v[80:81]
	;; [unrolled: 1-line block ×3, first 2 shown]
	v_add_f64 v[80:81], v[66:67], v[90:91]
	v_add_f64 v[70:71], v[14:15], v[66:67]
	v_fmac_f64_e32 v[14:15], -0.5, v[80:81]
	v_add_f64 v[70:71], v[70:71], v[82:83]
	v_fma_f64 v[80:81], s[12:13], v[78:79], v[14:15]
	v_add_f64 v[94:95], v[82:83], -v[66:67]
	v_add_f64 v[96:97], v[86:87], -v[90:91]
	v_fmac_f64_e32 v[14:15], s[4:5], v[78:79]
	v_add_f64 v[78:79], v[84:85], v[88:89]
	v_add_f64 v[70:71], v[70:71], v[86:87]
	v_fmac_f64_e32 v[80:81], s[2:3], v[74:75]
	v_add_f64 v[94:95], v[94:95], v[96:97]
	v_fmac_f64_e32 v[14:15], s[14:15], v[74:75]
	v_fma_f64 v[78:79], -0.5, v[78:79], v[16:17]
	v_add_f64 v[66:67], v[66:67], -v[90:91]
	v_add_f64 v[70:71], v[70:71], v[90:91]
	v_fmac_f64_e32 v[80:81], s[8:9], v[94:95]
	v_fmac_f64_e32 v[14:15], s[8:9], v[94:95]
	v_fma_f64 v[94:95], s[12:13], v[66:67], v[78:79]
	v_add_f64 v[82:83], v[82:83], -v[86:87]
	v_add_f64 v[86:87], v[68:69], -v[84:85]
	;; [unrolled: 1-line block ×3, first 2 shown]
	v_fmac_f64_e32 v[78:79], s[4:5], v[66:67]
	v_fmac_f64_e32 v[94:95], s[14:15], v[82:83]
	v_add_f64 v[86:87], v[86:87], v[90:91]
	v_fmac_f64_e32 v[78:79], s[2:3], v[82:83]
	v_fmac_f64_e32 v[94:95], s[8:9], v[86:87]
	;; [unrolled: 1-line block ×3, first 2 shown]
	v_add_f64 v[86:87], v[68:69], v[92:93]
	v_add_f64 v[74:75], v[16:17], v[68:69]
	v_fmac_f64_e32 v[16:17], -0.5, v[86:87]
	v_fma_f64 v[96:97], s[4:5], v[82:83], v[16:17]
	v_fmac_f64_e32 v[16:17], s[12:13], v[82:83]
	v_fmac_f64_e32 v[96:97], s[14:15], v[66:67]
	;; [unrolled: 1-line block ×3, first 2 shown]
	v_add_f64 v[66:67], v[26:27], v[46:47]
	v_add_f64 v[66:67], v[66:67], v[50:51]
	;; [unrolled: 1-line block ×3, first 2 shown]
	v_add_f64 v[68:69], v[84:85], -v[68:69]
	v_add_f64 v[84:85], v[88:89], -v[92:93]
	v_add_f64 v[66:67], v[66:67], v[54:55]
	v_add_f64 v[68:69], v[68:69], v[84:85]
	s_waitcnt lgkmcnt(10)
	v_add_f64 v[82:83], v[66:67], v[58:59]
	v_add_f64 v[66:67], v[50:51], v[54:55]
	v_fmac_f64_e32 v[96:97], s[8:9], v[68:69]
	v_fmac_f64_e32 v[16:17], s[8:9], v[68:69]
	v_fma_f64 v[68:69], -0.5, v[66:67], v[26:27]
	v_add_f64 v[66:67], v[48:49], -v[60:61]
	v_add_f64 v[74:75], v[74:75], v[88:89]
	v_fma_f64 v[84:85], s[4:5], v[66:67], v[68:69]
	v_add_f64 v[86:87], v[52:53], -v[56:57]
	v_add_f64 v[88:89], v[46:47], -v[50:51]
	;; [unrolled: 1-line block ×3, first 2 shown]
	v_fmac_f64_e32 v[68:69], s[12:13], v[66:67]
	v_fmac_f64_e32 v[84:85], s[2:3], v[86:87]
	v_add_f64 v[88:89], v[88:89], v[90:91]
	v_fmac_f64_e32 v[68:69], s[14:15], v[86:87]
	v_fmac_f64_e32 v[84:85], s[8:9], v[88:89]
	v_fmac_f64_e32 v[68:69], s[8:9], v[88:89]
	v_add_f64 v[88:89], v[46:47], v[58:59]
	v_fmac_f64_e32 v[26:27], -0.5, v[88:89]
	v_fma_f64 v[88:89], s[12:13], v[86:87], v[26:27]
	v_fmac_f64_e32 v[26:27], s[4:5], v[86:87]
	v_fmac_f64_e32 v[88:89], s[2:3], v[66:67]
	;; [unrolled: 1-line block ×3, first 2 shown]
	v_add_f64 v[66:67], v[28:29], v[48:49]
	v_add_f64 v[66:67], v[66:67], v[52:53]
	;; [unrolled: 1-line block ×3, first 2 shown]
	v_add_f64 v[90:91], v[50:51], -v[46:47]
	v_add_f64 v[92:93], v[54:55], -v[58:59]
	v_add_f64 v[66:67], v[66:67], v[56:57]
	v_add_f64 v[90:91], v[90:91], v[92:93]
	;; [unrolled: 1-line block ×4, first 2 shown]
	v_fma_f64 v[86:87], -0.5, v[66:67], v[28:29]
	v_add_f64 v[46:47], v[46:47], -v[58:59]
	v_fmac_f64_e32 v[88:89], s[8:9], v[90:91]
	v_fmac_f64_e32 v[26:27], s[8:9], v[90:91]
	v_fma_f64 v[90:91], s[12:13], v[46:47], v[86:87]
	v_add_f64 v[50:51], v[50:51], -v[54:55]
	v_add_f64 v[54:55], v[48:49], -v[52:53]
	;; [unrolled: 1-line block ×3, first 2 shown]
	v_fmac_f64_e32 v[86:87], s[4:5], v[46:47]
	v_fmac_f64_e32 v[90:91], s[14:15], v[50:51]
	v_add_f64 v[54:55], v[54:55], v[58:59]
	v_fmac_f64_e32 v[86:87], s[2:3], v[50:51]
	v_fmac_f64_e32 v[90:91], s[8:9], v[54:55]
	;; [unrolled: 1-line block ×3, first 2 shown]
	v_add_f64 v[54:55], v[48:49], v[60:61]
	v_fmac_f64_e32 v[28:29], -0.5, v[54:55]
	v_fma_f64 v[98:99], s[4:5], v[50:51], v[28:29]
	v_add_f64 v[48:49], v[52:53], -v[48:49]
	v_add_f64 v[52:53], v[56:57], -v[60:61]
	v_fmac_f64_e32 v[28:29], s[12:13], v[50:51]
	v_add_f64 v[48:49], v[48:49], v[52:53]
	v_fmac_f64_e32 v[28:29], s[2:3], v[46:47]
	v_fmac_f64_e32 v[98:99], s[14:15], v[46:47]
	;; [unrolled: 1-line block ×3, first 2 shown]
	v_mul_f64 v[104:105], v[26:27], s[18:19]
	v_mul_f64 v[110:111], v[68:69], s[16:17]
	v_fmac_f64_e32 v[98:99], s[8:9], v[48:49]
	v_fmac_f64_e32 v[104:105], s[4:5], v[28:29]
	;; [unrolled: 1-line block ×3, first 2 shown]
	v_mul_f64 v[112:113], v[88:89], s[12:13]
	v_mul_f64 v[28:29], v[28:29], s[18:19]
	;; [unrolled: 1-line block ×4, first 2 shown]
	v_add_f64 v[58:59], v[14:15], v[104:105]
	v_add_f64 v[66:67], v[72:73], v[110:111]
	v_mul_f64 v[84:85], v[84:85], s[14:15]
	v_fmac_f64_e32 v[112:113], s[8:9], v[98:99]
	v_fmac_f64_e32 v[28:29], s[12:13], v[26:27]
	v_mul_f64 v[98:99], v[86:87], s[16:17]
	v_add_f64 v[26:27], v[14:15], -v[104:105]
	v_add_f64 v[14:15], v[72:73], -v[110:111]
	s_waitcnt lgkmcnt(3)
	v_add_f64 v[72:73], v[38:39], v[42:43]
	v_fmac_f64_e32 v[100:101], s[2:3], v[90:91]
	v_fmac_f64_e32 v[102:103], s[8:9], v[88:89]
	v_add_f64 v[48:49], v[74:75], v[92:93]
	v_fmac_f64_e32 v[84:85], s[20:21], v[90:91]
	v_fmac_f64_e32 v[98:99], s[14:15], v[68:69]
	v_add_f64 v[92:93], v[74:75], -v[92:93]
	v_fma_f64 v[72:73], -0.5, v[72:73], v[2:3]
	s_waitcnt lgkmcnt(1)
	v_add_f64 v[74:75], v[36:37], -v[64:65]
	v_add_f64 v[46:47], v[70:71], v[82:83]
	v_add_f64 v[50:51], v[76:77], v[100:101]
	;; [unrolled: 1-line block ×6, first 2 shown]
	v_add_f64 v[90:91], v[70:71], -v[82:83]
	v_add_f64 v[86:87], v[76:77], -v[100:101]
	;; [unrolled: 1-line block ×6, first 2 shown]
	v_fma_f64 v[76:77], s[4:5], v[74:75], v[72:73]
	v_add_f64 v[78:79], v[40:41], -v[44:45]
	v_add_f64 v[80:81], v[34:35], -v[38:39]
	;; [unrolled: 1-line block ×3, first 2 shown]
	v_fmac_f64_e32 v[72:73], s[12:13], v[74:75]
	v_fmac_f64_e32 v[76:77], s[2:3], v[78:79]
	v_add_f64 v[80:81], v[80:81], v[94:95]
	v_fmac_f64_e32 v[72:73], s[14:15], v[78:79]
	v_fmac_f64_e32 v[76:77], s[8:9], v[80:81]
	v_fmac_f64_e32 v[72:73], s[8:9], v[80:81]
	v_add_f64 v[80:81], v[34:35], v[62:63]
	v_add_f64 v[70:71], v[2:3], v[34:35]
	v_fmac_f64_e32 v[2:3], -0.5, v[80:81]
	v_add_f64 v[56:57], v[96:97], v[112:113]
	v_add_f64 v[84:85], v[96:97], -v[112:113]
	v_add_f64 v[70:71], v[70:71], v[38:39]
	v_fma_f64 v[80:81], s[12:13], v[78:79], v[2:3]
	v_add_f64 v[94:95], v[38:39], -v[34:35]
	v_add_f64 v[96:97], v[42:43], -v[62:63]
	v_fmac_f64_e32 v[2:3], s[4:5], v[78:79]
	v_add_f64 v[78:79], v[40:41], v[44:45]
	v_add_f64 v[70:71], v[70:71], v[42:43]
	v_fmac_f64_e32 v[80:81], s[2:3], v[74:75]
	v_add_f64 v[94:95], v[94:95], v[96:97]
	v_fmac_f64_e32 v[2:3], s[14:15], v[74:75]
	v_fma_f64 v[78:79], -0.5, v[78:79], v[4:5]
	v_add_f64 v[34:35], v[34:35], -v[62:63]
	v_add_f64 v[70:71], v[70:71], v[62:63]
	v_fmac_f64_e32 v[80:81], s[8:9], v[94:95]
	v_fmac_f64_e32 v[2:3], s[8:9], v[94:95]
	v_fma_f64 v[94:95], s[12:13], v[34:35], v[78:79]
	v_add_f64 v[38:39], v[38:39], -v[42:43]
	v_add_f64 v[42:43], v[36:37], -v[40:41]
	;; [unrolled: 1-line block ×3, first 2 shown]
	v_fmac_f64_e32 v[78:79], s[4:5], v[34:35]
	v_fmac_f64_e32 v[94:95], s[14:15], v[38:39]
	v_add_f64 v[42:43], v[42:43], v[62:63]
	v_fmac_f64_e32 v[78:79], s[2:3], v[38:39]
	v_fmac_f64_e32 v[94:95], s[8:9], v[42:43]
	;; [unrolled: 1-line block ×3, first 2 shown]
	v_add_f64 v[42:43], v[36:37], v[64:65]
	v_add_f64 v[74:75], v[4:5], v[36:37]
	v_fmac_f64_e32 v[4:5], -0.5, v[42:43]
	v_fma_f64 v[96:97], s[4:5], v[38:39], v[4:5]
	v_fmac_f64_e32 v[4:5], s[12:13], v[38:39]
	v_fmac_f64_e32 v[96:97], s[14:15], v[34:35]
	;; [unrolled: 1-line block ×3, first 2 shown]
	v_add_f64 v[34:35], v[6:7], v[10:11]
	v_add_f64 v[34:35], v[34:35], v[18:19]
	;; [unrolled: 1-line block ×3, first 2 shown]
	v_add_f64 v[36:37], v[40:41], -v[36:37]
	v_add_f64 v[40:41], v[44:45], -v[64:65]
	v_add_f64 v[34:35], v[34:35], v[22:23]
	v_add_f64 v[36:37], v[36:37], v[40:41]
	s_waitcnt lgkmcnt(0)
	v_add_f64 v[38:39], v[34:35], v[30:31]
	v_add_f64 v[34:35], v[18:19], v[22:23]
	v_fmac_f64_e32 v[96:97], s[8:9], v[36:37]
	v_fmac_f64_e32 v[4:5], s[8:9], v[36:37]
	v_fma_f64 v[36:37], -0.5, v[34:35], v[6:7]
	v_add_f64 v[34:35], v[12:13], -v[32:33]
	v_add_f64 v[74:75], v[74:75], v[44:45]
	v_fma_f64 v[40:41], s[4:5], v[34:35], v[36:37]
	v_add_f64 v[42:43], v[20:21], -v[24:25]
	v_add_f64 v[44:45], v[10:11], -v[18:19]
	;; [unrolled: 1-line block ×3, first 2 shown]
	v_fmac_f64_e32 v[36:37], s[12:13], v[34:35]
	v_fmac_f64_e32 v[40:41], s[2:3], v[42:43]
	v_add_f64 v[44:45], v[44:45], v[62:63]
	v_fmac_f64_e32 v[36:37], s[14:15], v[42:43]
	v_fmac_f64_e32 v[40:41], s[8:9], v[44:45]
	;; [unrolled: 1-line block ×3, first 2 shown]
	v_add_f64 v[44:45], v[10:11], v[30:31]
	v_fmac_f64_e32 v[6:7], -0.5, v[44:45]
	v_fma_f64 v[44:45], s[12:13], v[42:43], v[6:7]
	v_fmac_f64_e32 v[6:7], s[4:5], v[42:43]
	v_fmac_f64_e32 v[44:45], s[2:3], v[34:35]
	;; [unrolled: 1-line block ×3, first 2 shown]
	v_add_f64 v[34:35], v[8:9], v[12:13]
	v_add_f64 v[34:35], v[34:35], v[20:21]
	;; [unrolled: 1-line block ×3, first 2 shown]
	v_add_f64 v[62:63], v[18:19], -v[10:11]
	v_add_f64 v[64:65], v[22:23], -v[30:31]
	v_add_f64 v[34:35], v[34:35], v[24:25]
	v_add_f64 v[62:63], v[62:63], v[64:65]
	;; [unrolled: 1-line block ×4, first 2 shown]
	v_fma_f64 v[42:43], -0.5, v[34:35], v[8:9]
	v_add_f64 v[10:11], v[10:11], -v[30:31]
	v_fmac_f64_e32 v[44:45], s[8:9], v[62:63]
	v_fmac_f64_e32 v[6:7], s[8:9], v[62:63]
	v_fma_f64 v[62:63], s[12:13], v[10:11], v[42:43]
	v_add_f64 v[18:19], v[18:19], -v[22:23]
	v_add_f64 v[22:23], v[12:13], -v[20:21]
	;; [unrolled: 1-line block ×3, first 2 shown]
	v_fmac_f64_e32 v[42:43], s[4:5], v[10:11]
	v_fmac_f64_e32 v[62:63], s[14:15], v[18:19]
	v_add_f64 v[22:23], v[22:23], v[30:31]
	v_fmac_f64_e32 v[42:43], s[2:3], v[18:19]
	v_fmac_f64_e32 v[62:63], s[8:9], v[22:23]
	v_fmac_f64_e32 v[42:43], s[8:9], v[22:23]
	v_add_f64 v[22:23], v[12:13], v[32:33]
	v_fmac_f64_e32 v[8:9], -0.5, v[22:23]
	v_fma_f64 v[98:99], s[4:5], v[18:19], v[8:9]
	v_add_f64 v[12:13], v[20:21], -v[12:13]
	v_add_f64 v[20:21], v[24:25], -v[32:33]
	v_fmac_f64_e32 v[98:99], s[14:15], v[10:11]
	v_add_f64 v[12:13], v[12:13], v[20:21]
	v_fmac_f64_e32 v[98:99], s[8:9], v[12:13]
	v_fmac_f64_e32 v[8:9], s[12:13], v[18:19]
	;; [unrolled: 1-line block ×3, first 2 shown]
	v_mul_f64 v[102:103], v[98:99], s[4:5]
	v_fmac_f64_e32 v[8:9], s[8:9], v[12:13]
	v_fmac_f64_e32 v[102:103], s[8:9], v[44:45]
	v_mul_f64 v[44:45], v[44:45], s[12:13]
	v_fmac_f64_e32 v[44:45], s[8:9], v[98:99]
	v_mul_f64 v[98:99], v[8:9], s[18:19]
	v_add_f64 v[10:11], v[70:71], v[38:39]
	v_mul_f64 v[104:105], v[6:7], s[18:19]
	v_fmac_f64_e32 v[98:99], s[12:13], v[6:7]
	v_add_f64 v[6:7], v[70:71], -v[38:39]
	v_mul_u32_u24_e32 v70, 10, v109
	v_add_lshl_u32 v108, v234, v70, 4
	v_add_u32_e32 v70, -10, v109
	v_mul_f64 v[100:101], v[40:41], s[20:21]
	v_mul_f64 v[110:111], v[36:37], s[16:17]
	;; [unrolled: 1-line block ×4, first 2 shown]
	s_waitcnt lgkmcnt(0)
	; wave barrier
	ds_write_b128 v108, v[46:49]
	ds_write_b128 v108, v[50:53] offset:16
	ds_write_b128 v108, v[54:57] offset:32
	;; [unrolled: 1-line block ×9, first 2 shown]
	v_cndmask_b32_e32 v86, v70, v109, vcc
	v_fmac_f64_e32 v[100:101], s[2:3], v[62:63]
	v_fmac_f64_e32 v[104:105], s[4:5], v[8:9]
	;; [unrolled: 1-line block ×5, first 2 shown]
	v_mul_u32_u24_e32 v14, 10, v1
	v_mul_hi_i32_i24_e32 v71, 48, v86
	v_mul_i32_i24_e32 v70, 48, v86
	v_add_f64 v[18:19], v[76:77], v[100:101]
	v_add_f64 v[22:23], v[80:81], v[102:103]
	;; [unrolled: 1-line block ×9, first 2 shown]
	v_add_f64 v[38:39], v[76:77], -v[100:101]
	v_add_f64 v[42:43], v[80:81], -v[102:103]
	;; [unrolled: 1-line block ×9, first 2 shown]
	v_add_lshl_u32 v254, v234, v14, 4
	v_lshl_add_u64 v[70:71], s[6:7], 0, v[70:71]
	ds_write_b128 v254, v[10:13]
	ds_write_b128 v254, v[18:21] offset:16
	ds_write_b128 v254, v[22:25] offset:32
	;; [unrolled: 1-line block ×9, first 2 shown]
	s_waitcnt lgkmcnt(0)
	; wave barrier
	s_waitcnt lgkmcnt(0)
	ds_read_b128 v[18:21], v107
	ds_read_b128 v[102:105], v107 offset:1280
	ds_read_b128 v[98:101], v107 offset:2560
	;; [unrolled: 1-line block ×19, first 2 shown]
	global_load_dwordx4 v[78:81], v[70:71], off offset:32
	global_load_dwordx4 v[74:77], v[70:71], off offset:16
	global_load_dwordx4 v[82:85], v[70:71], off
	v_mul_lo_u16_e32 v89, 26, v214
	v_cmp_lt_u32_e32 vcc, 9, v109
	s_waitcnt vmcnt(0) lgkmcnt(14)
	v_mul_f64 v[70:71], v[104:105], v[84:85]
	v_mul_f64 v[72:73], v[102:103], v[84:85]
	v_accvgpr_write_b32 a95, v85
	v_fma_f64 v[70:71], v[102:103], v[82:83], -v[70:71]
	v_fmac_f64_e32 v[72:73], v[104:105], v[82:83]
	v_accvgpr_write_b32 a94, v84
	v_accvgpr_write_b32 a93, v83
	;; [unrolled: 1-line block ×3, first 2 shown]
	v_mov_b64_e32 v[84:85], v[76:77]
	v_mov_b64_e32 v[82:83], v[74:75]
	v_mul_f64 v[74:75], v[100:101], v[84:85]
	v_mul_f64 v[76:77], v[98:99], v[84:85]
	v_accvgpr_write_b32 a91, v85
	v_fma_f64 v[74:75], v[98:99], v[82:83], -v[74:75]
	v_fmac_f64_e32 v[76:77], v[100:101], v[82:83]
	v_accvgpr_write_b32 a90, v84
	v_accvgpr_write_b32 a89, v83
	;; [unrolled: 1-line block ×3, first 2 shown]
	v_mov_b64_e32 v[84:85], v[80:81]
	v_mov_b64_e32 v[82:83], v[78:79]
	v_mul_f64 v[78:79], v[96:97], v[84:85]
	v_mul_f64 v[80:81], v[94:95], v[84:85]
	v_accvgpr_write_b32 a87, v85
	v_fma_f64 v[78:79], v[94:95], v[82:83], -v[78:79]
	v_fmac_f64_e32 v[80:81], v[96:97], v[82:83]
	v_accvgpr_write_b32 a86, v84
	v_accvgpr_write_b32 a85, v83
	;; [unrolled: 1-line block ×3, first 2 shown]
	v_mul_lo_u16_e32 v82, 26, v1
	v_lshrrev_b16_e32 v87, 8, v82
	v_mul_lo_u16_e32 v82, 10, v87
	v_sub_u16_e32 v88, v1, v82
	v_and_b32_e32 v1, 0xff, v88
	v_mad_u64_u32 v[82:83], s[24:25], v1, 48, s[6:7]
	global_load_dwordx4 v[90:93], v[82:83], off offset:32
	global_load_dwordx4 v[94:97], v[82:83], off offset:16
	global_load_dwordx4 v[98:101], v[82:83], off
	v_mov_b32_e32 v1, 10
	s_waitcnt vmcnt(2)
	v_accvgpr_write_b32 a99, v93
	s_waitcnt vmcnt(1) lgkmcnt(13)
	v_mul_f64 v[84:85], v[62:63], v[96:97]
	s_waitcnt vmcnt(0)
	v_mul_f64 v[82:83], v[68:69], v[100:101]
	v_fma_f64 v[82:83], v[66:67], v[98:99], -v[82:83]
	v_mul_f64 v[66:67], v[66:67], v[100:101]
	v_fmac_f64_e32 v[66:67], v[68:69], v[98:99]
	v_mul_f64 v[68:69], v[64:65], v[96:97]
	v_fma_f64 v[68:69], v[62:63], v[94:95], -v[68:69]
	v_accvgpr_write_b32 a103, v97
	s_waitcnt lgkmcnt(12)
	v_mul_f64 v[62:63], v[60:61], v[92:93]
	v_fmac_f64_e32 v[84:85], v[64:65], v[94:95]
	v_accvgpr_write_b32 a102, v96
	v_accvgpr_write_b32 a101, v95
	;; [unrolled: 1-line block ×3, first 2 shown]
	v_fma_f64 v[64:65], v[58:59], v[90:91], -v[62:63]
	v_mul_f64 v[58:59], v[58:59], v[92:93]
	v_mul_lo_u16_e32 v96, 26, v0
	v_fmac_f64_e32 v[58:59], v[60:61], v[90:91]
	v_mul_lo_u16_sdwa v60, v89, v1 dst_sel:DWORD dst_unused:UNUSED_PAD src0_sel:BYTE_1 src1_sel:DWORD
	v_mul_lo_u16_sdwa v1, v96, v1 dst_sel:DWORD dst_unused:UNUSED_PAD src0_sel:BYTE_1 src1_sel:DWORD
	v_sub_u16_e32 v60, v214, v60
	v_sub_u16_e32 v0, v0, v1
	v_accvgpr_write_b32 a98, v92
	v_accvgpr_write_b32 a97, v91
	;; [unrolled: 1-line block ×3, first 2 shown]
	v_and_b32_e32 v91, 0xff, v60
	v_and_b32_e32 v162, 0xff, v0
	v_accvgpr_write_b32 a107, v101
	v_mad_u64_u32 v[60:61], s[24:25], v91, 48, s[6:7]
	v_mad_u64_u32 v[0:1], s[24:25], v162, 48, s[6:7]
	v_accvgpr_write_b32 a106, v100
	v_accvgpr_write_b32 a105, v99
	;; [unrolled: 1-line block ×3, first 2 shown]
	global_load_dwordx4 v[100:103], v[60:61], off offset:32
	global_load_dwordx4 v[110:113], v[60:61], off offset:16
	global_load_dwordx4 v[114:117], v[60:61], off
	global_load_dwordx4 v[118:121], v[0:1], off offset:32
	global_load_dwordx4 v[122:125], v[0:1], off offset:16
	global_load_dwordx4 v[126:129], v[0:1], off
	s_waitcnt vmcnt(5) lgkmcnt(8)
	v_mul_f64 v[146:147], v[46:47], v[102:103]
	s_waitcnt vmcnt(4)
	v_mul_f64 v[140:141], v[50:51], v[112:113]
	s_waitcnt vmcnt(3)
	v_mul_f64 v[60:61], v[56:57], v[116:117]
	s_waitcnt vmcnt(0) lgkmcnt(6)
	v_mul_f64 v[0:1], v[44:45], v[128:129]
	v_fma_f64 v[0:1], v[42:43], v[126:127], -v[0:1]
	v_mul_f64 v[148:149], v[42:43], v[128:129]
	s_waitcnt lgkmcnt(5)
	v_mul_f64 v[42:43], v[40:41], v[124:125]
	v_fma_f64 v[154:155], v[38:39], v[122:123], -v[42:43]
	v_mul_f64 v[38:39], v[38:39], v[124:125]
	v_fmac_f64_e32 v[38:39], v[40:41], v[122:123]
	s_waitcnt lgkmcnt(4)
	v_mul_f64 v[40:41], v[36:37], v[120:121]
	v_fma_f64 v[156:157], v[34:35], v[118:119], -v[40:41]
	v_mul_f64 v[34:35], v[34:35], v[120:121]
	v_fmac_f64_e32 v[34:35], v[36:37], v[118:119]
	v_or_b32_e32 v36, 64, v109
	v_mul_lo_u16_e32 v37, 0x67, v36
	v_lshrrev_b16_e32 v163, 10, v37
	v_mul_lo_u16_e32 v37, 10, v163
	v_sub_u16_e32 v36, v36, v37
	v_and_b32_e32 v164, 0xff, v36
	v_mad_u64_u32 v[36:37], s[24:25], v164, 48, s[6:7]
	global_load_dwordx4 v[142:145], v[36:37], off offset:32
	global_load_dwordx4 v[150:153], v[36:37], off offset:16
	global_load_dwordx4 v[158:161], v[36:37], off
	v_fma_f64 v[138:139], v[54:55], v[114:115], -v[60:61]
	v_mul_f64 v[54:55], v[54:55], v[116:117]
	v_fmac_f64_e32 v[54:55], v[56:57], v[114:115]
	v_mul_f64 v[56:57], v[52:53], v[112:113]
	v_fma_f64 v[56:57], v[50:51], v[110:111], -v[56:57]
	v_mul_f64 v[50:51], v[48:49], v[102:103]
	v_fmac_f64_e32 v[140:141], v[52:53], v[110:111]
	v_fma_f64 v[52:53], v[46:47], v[100:101], -v[50:51]
	v_fmac_f64_e32 v[146:147], v[48:49], v[100:101]
	v_fmac_f64_e32 v[148:149], v[44:45], v[126:127]
	s_waitcnt lgkmcnt(0)
	; wave barrier
	s_waitcnt vmcnt(1) lgkmcnt(0)
	v_mul_f64 v[172:173], v[26:27], v[152:153]
	s_waitcnt vmcnt(0)
	v_mul_f64 v[36:37], v[32:33], v[160:161]
	v_fma_f64 v[166:167], v[30:31], v[158:159], -v[36:37]
	v_mul_f64 v[168:169], v[30:31], v[160:161]
	v_mul_f64 v[30:31], v[28:29], v[152:153]
	v_fma_f64 v[170:171], v[26:27], v[150:151], -v[30:31]
	v_mul_f64 v[26:27], v[24:25], v[144:145]
	v_fma_f64 v[174:175], v[22:23], v[142:143], -v[26:27]
	v_mul_f64 v[22:23], v[22:23], v[144:145]
	v_fmac_f64_e32 v[172:173], v[28:29], v[150:151]
	v_fmac_f64_e32 v[22:23], v[24:25], v[142:143]
	v_add_f64 v[24:25], v[18:19], -v[74:75]
	v_add_f64 v[26:27], v[20:21], -v[76:77]
	;; [unrolled: 1-line block ×4, first 2 shown]
	v_fmac_f64_e32 v[168:169], v[32:33], v[158:159]
	v_fma_f64 v[18:19], v[18:19], 2.0, -v[24:25]
	v_fma_f64 v[20:21], v[20:21], 2.0, -v[26:27]
	;; [unrolled: 1-line block ×4, first 2 shown]
	v_add_f64 v[48:49], v[18:19], -v[32:33]
	v_add_f64 v[50:51], v[20:21], -v[36:37]
	;; [unrolled: 1-line block ×3, first 2 shown]
	v_add_f64 v[62:63], v[26:27], v[28:29]
	v_fma_f64 v[70:71], v[18:19], 2.0, -v[48:49]
	v_fma_f64 v[72:73], v[20:21], 2.0, -v[50:51]
	;; [unrolled: 1-line block ×4, first 2 shown]
	v_add_f64 v[18:19], v[14:15], -v[68:69]
	v_add_f64 v[20:21], v[16:17], -v[84:85]
	;; [unrolled: 1-line block ×4, first 2 shown]
	v_fma_f64 v[14:15], v[14:15], 2.0, -v[18:19]
	v_fma_f64 v[16:17], v[16:17], 2.0, -v[20:21]
	;; [unrolled: 1-line block ×4, first 2 shown]
	v_add_f64 v[44:45], v[14:15], -v[28:29]
	v_add_f64 v[46:47], v[16:17], -v[30:31]
	;; [unrolled: 1-line block ×3, first 2 shown]
	v_add_f64 v[42:43], v[20:21], v[24:25]
	v_fma_f64 v[130:131], v[14:15], 2.0, -v[44:45]
	v_fma_f64 v[132:133], v[16:17], 2.0, -v[46:47]
	;; [unrolled: 1-line block ×4, first 2 shown]
	v_add_f64 v[14:15], v[10:11], -v[56:57]
	v_add_f64 v[16:17], v[12:13], -v[140:141]
	;; [unrolled: 1-line block ×4, first 2 shown]
	v_fma_f64 v[10:11], v[10:11], 2.0, -v[14:15]
	v_fma_f64 v[12:13], v[12:13], 2.0, -v[16:17]
	;; [unrolled: 1-line block ×4, first 2 shown]
	v_add_f64 v[28:29], v[10:11], -v[24:25]
	v_add_f64 v[30:31], v[12:13], -v[26:27]
	;; [unrolled: 1-line block ×3, first 2 shown]
	v_add_f64 v[26:27], v[16:17], v[18:19]
	v_add_f64 v[18:19], v[8:9], -v[38:39]
	v_add_f64 v[20:21], v[148:149], -v[34:35]
	v_fma_f64 v[52:53], v[14:15], 2.0, -v[24:25]
	v_fma_f64 v[8:9], v[8:9], 2.0, -v[18:19]
	;; [unrolled: 1-line block ×5, first 2 shown]
	v_add_f64 v[16:17], v[6:7], -v[154:155]
	v_add_f64 v[10:11], v[0:1], -v[156:157]
	;; [unrolled: 1-line block ×3, first 2 shown]
	v_fma_f64 v[6:7], v[6:7], 2.0, -v[16:17]
	v_fma_f64 v[0:1], v[0:1], 2.0, -v[10:11]
	;; [unrolled: 1-line block ×3, first 2 shown]
	v_add_f64 v[8:9], v[16:17], -v[20:21]
	v_add_f64 v[10:11], v[18:19], v[10:11]
	v_fma_f64 v[58:59], v[12:13], 2.0, -v[30:31]
	v_add_f64 v[12:13], v[6:7], -v[0:1]
	v_fma_f64 v[32:33], v[16:17], 2.0, -v[8:9]
	v_fma_f64 v[34:35], v[18:19], 2.0, -v[10:11]
	v_add_f64 v[16:17], v[2:3], -v[170:171]
	v_add_f64 v[18:19], v[4:5], -v[172:173]
	;; [unrolled: 1-line block ×3, first 2 shown]
	v_fma_f64 v[36:37], v[6:7], 2.0, -v[12:13]
	v_fma_f64 v[0:1], v[2:3], 2.0, -v[16:17]
	v_fma_f64 v[2:3], v[4:5], 2.0, -v[18:19]
	v_fma_f64 v[6:7], v[168:169], 2.0, -v[74:75]
	v_add_f64 v[68:69], v[166:167], -v[174:175]
	v_add_f64 v[6:7], v[2:3], -v[6:7]
	v_fma_f64 v[4:5], v[166:167], 2.0, -v[68:69]
	v_fma_f64 v[22:23], v[2:3], 2.0, -v[6:7]
	v_add_f64 v[2:3], v[18:19], v[68:69]
	v_cndmask_b32_e64 v68, 0, 40, vcc
	v_add_u32_e32 v68, v86, v68
	v_add_lshl_u32 v104, v234, v68, 4
	ds_write_b128 v104, v[70:73]
	ds_write_b128 v104, v[134:137] offset:160
	ds_write_b128 v104, v[48:51] offset:320
	;; [unrolled: 1-line block ×3, first 2 shown]
	v_mad_legacy_u16 v48, v87, 40, v88
	v_and_b32_e32 v48, 0xff, v48
	v_add_lshl_u32 v48, v234, v48, 4
	ds_write_b128 v48, v[130:133]
	ds_write_b128 v48, v[64:67] offset:160
	ds_write_b128 v48, v[44:47] offset:320
	;; [unrolled: 1-line block ×3, first 2 shown]
	v_mov_b32_e32 v40, 40
	v_mul_u32_u24_sdwa v41, v89, v40 dst_sel:DWORD dst_unused:UNUSED_PAD src0_sel:BYTE_1 src1_sel:DWORD
	v_add_u32_e32 v41, v41, v91
	v_add_lshl_u32 v41, v234, v41, 4
	ds_write_b128 v41, v[56:59]
	ds_write_b128 v41, v[52:55] offset:160
	ds_write_b128 v41, v[28:31] offset:320
	;; [unrolled: 1-line block ×3, first 2 shown]
	v_mul_u32_u24_sdwa v24, v96, v40 dst_sel:DWORD dst_unused:UNUSED_PAD src0_sel:BYTE_1 src1_sel:DWORD
	v_add_u32_e32 v24, v24, v162
	v_add_lshl_u32 v24, v234, v24, 4
	v_add_f64 v[4:5], v[0:1], -v[4:5]
	ds_write_b128 v24, v[36:39]
	ds_write_b128 v24, v[32:35] offset:160
	ds_write_b128 v24, v[12:15] offset:320
	;; [unrolled: 1-line block ×3, first 2 shown]
	v_mul_u32_u24_e32 v8, 40, v163
	v_fma_f64 v[20:21], v[0:1], 2.0, -v[4:5]
	v_add_f64 v[0:1], v[16:17], -v[74:75]
	v_add_u32_e32 v8, v8, v164
	v_fma_f64 v[16:17], v[16:17], 2.0, -v[0:1]
	v_fma_f64 v[18:19], v[18:19], 2.0, -v[2:3]
	v_add_lshl_u32 v255, v234, v8, 4
	v_accvgpr_write_b32 a109, v48
	v_accvgpr_write_b32 a108, v41
	;; [unrolled: 1-line block ×3, first 2 shown]
	ds_write_b128 v255, v[20:23]
	ds_write_b128 v255, v[16:19] offset:160
	ds_write_b128 v255, v[4:7] offset:320
	;; [unrolled: 1-line block ×3, first 2 shown]
	s_waitcnt lgkmcnt(0)
	; wave barrier
	s_waitcnt lgkmcnt(0)
	ds_read_b128 v[16:19], v107
	ds_read_b128 v[162:165], v107 offset:1280
	ds_read_b128 v[146:149], v107 offset:2560
	;; [unrolled: 1-line block ×19, first 2 shown]
	global_load_dwordx4 v[130:133], v[198:199], off offset:512
	global_load_dwordx4 v[138:141], v[198:199], off offset:496
	;; [unrolled: 1-line block ×3, first 2 shown]
	v_cmp_gt_u64_e32 vcc, 40, v[214:215]
	s_waitcnt vmcnt(2) lgkmcnt(14)
	v_mul_f64 v[76:77], v[136:137], v[132:133]
	s_waitcnt vmcnt(1)
	v_mul_f64 v[72:73], v[148:149], v[140:141]
	s_waitcnt vmcnt(0)
	v_mul_f64 v[68:69], v[164:165], v[156:157]
	v_mul_f64 v[70:71], v[162:163], v[156:157]
	;; [unrolled: 1-line block ×4, first 2 shown]
	v_fma_f64 v[68:69], v[162:163], v[154:155], -v[68:69]
	v_fmac_f64_e32 v[70:71], v[164:165], v[154:155]
	v_fma_f64 v[72:73], v[146:147], v[138:139], -v[72:73]
	v_fmac_f64_e32 v[74:75], v[148:149], v[138:139]
	v_fma_f64 v[76:77], v[134:135], v[130:131], -v[76:77]
	v_fmac_f64_e32 v[78:79], v[136:137], v[130:131]
	global_load_dwordx4 v[134:137], v[198:199], off offset:1280
	global_load_dwordx4 v[146:149], v[198:199], off offset:1264
	;; [unrolled: 1-line block ×3, first 2 shown]
	s_waitcnt vmcnt(0)
	v_mul_f64 v[80:81], v[66:67], v[164:165]
	v_fma_f64 v[80:81], v[64:65], v[162:163], -v[80:81]
	v_mul_f64 v[82:83], v[64:65], v[164:165]
	s_waitcnt lgkmcnt(13)
	v_mul_f64 v[64:65], v[62:63], v[148:149]
	v_fma_f64 v[84:85], v[60:61], v[146:147], -v[64:65]
	v_mul_f64 v[60:61], v[60:61], v[148:149]
	v_fmac_f64_e32 v[60:61], v[62:63], v[146:147]
	s_waitcnt lgkmcnt(12)
	v_mul_f64 v[62:63], v[58:59], v[136:137]
	v_fma_f64 v[62:63], v[56:57], v[134:135], -v[62:63]
	v_mul_f64 v[56:57], v[56:57], v[136:137]
	v_fmac_f64_e32 v[56:57], v[58:59], v[134:135]
	v_add_u32_e32 v58, -8, v109
	v_cndmask_b32_e32 v91, v58, v214, vcc
	v_mul_hi_i32_i24_e32 v59, 48, v91
	v_mul_i32_i24_e32 v58, 48, v91
	v_lshl_add_u64 v[58:59], s[6:7], 0, v[58:59]
	global_load_dwordx4 v[166:169], v[58:59], off offset:512
	global_load_dwordx4 v[170:173], v[58:59], off offset:496
	;; [unrolled: 1-line block ×8, first 2 shown]
	s_nop 0
	global_load_dwordx4 v[198:201], v[198:199], off offset:1632
	v_fmac_f64_e32 v[82:83], v[66:67], v[162:163]
	s_waitcnt lgkmcnt(0)
	; wave barrier
	s_waitcnt lgkmcnt(0)
	v_cmp_lt_u64_e32 vcc, 39, v[214:215]
	s_waitcnt vmcnt(7)
	v_mul_f64 v[222:223], v[48:49], v[172:173]
	s_waitcnt vmcnt(6)
	v_mul_f64 v[58:59], v[54:55], v[184:185]
	v_fma_f64 v[216:217], v[52:53], v[182:183], -v[58:59]
	v_mul_f64 v[218:219], v[52:53], v[184:185]
	v_mul_f64 v[52:53], v[50:51], v[172:173]
	v_fma_f64 v[220:221], v[48:49], v[170:171], -v[52:53]
	v_mul_f64 v[48:49], v[46:47], v[168:169]
	v_fma_f64 v[224:225], v[44:45], v[166:167], -v[48:49]
	v_mul_f64 v[44:45], v[44:45], v[168:169]
	v_fmac_f64_e32 v[44:45], v[46:47], v[166:167]
	s_waitcnt vmcnt(3)
	v_mul_f64 v[46:47], v[42:43], v[196:197]
	v_fma_f64 v[86:87], v[40:41], v[194:195], -v[46:47]
	v_mul_f64 v[88:89], v[40:41], v[196:197]
	v_mul_f64 v[40:41], v[38:39], v[180:181]
	v_fma_f64 v[226:227], v[36:37], v[178:179], -v[40:41]
	v_mul_f64 v[228:229], v[36:37], v[180:181]
	;; [unrolled: 3-line block ×3, first 2 shown]
	s_waitcnt vmcnt(0)
	v_mul_f64 v[32:33], v[30:31], v[200:201]
	v_fma_f64 v[236:237], v[28:29], v[198:199], -v[32:33]
	v_mul_f64 v[238:239], v[28:29], v[200:201]
	v_mul_f64 v[28:29], v[26:27], v[192:193]
	v_fma_f64 v[240:241], v[24:25], v[190:191], -v[28:29]
	v_mul_f64 v[248:249], v[24:25], v[192:193]
	v_mul_f64 v[24:25], v[22:23], v[188:189]
	;; [unrolled: 1-line block ×3, first 2 shown]
	v_fmac_f64_e32 v[248:249], v[26:27], v[190:191]
	v_fma_f64 v[250:251], v[20:21], v[186:187], -v[24:25]
	v_fmac_f64_e32 v[252:253], v[22:23], v[186:187]
	v_add_f64 v[20:21], v[16:17], -v[72:73]
	v_add_f64 v[22:23], v[18:19], -v[74:75]
	;; [unrolled: 1-line block ×4, first 2 shown]
	v_fmac_f64_e32 v[238:239], v[30:31], v[198:199]
	v_fma_f64 v[16:17], v[16:17], 2.0, -v[20:21]
	v_fma_f64 v[18:19], v[18:19], 2.0, -v[22:23]
	;; [unrolled: 1-line block ×4, first 2 shown]
	v_add_f64 v[64:65], v[16:17], -v[28:29]
	v_add_f64 v[66:67], v[18:19], -v[30:31]
	;; [unrolled: 1-line block ×3, first 2 shown]
	v_add_f64 v[204:205], v[22:23], v[24:25]
	v_fma_f64 v[210:211], v[16:17], 2.0, -v[64:65]
	v_fma_f64 v[212:213], v[18:19], 2.0, -v[66:67]
	;; [unrolled: 1-line block ×4, first 2 shown]
	v_add_f64 v[16:17], v[12:13], -v[84:85]
	v_add_f64 v[18:19], v[14:15], -v[60:61]
	;; [unrolled: 1-line block ×4, first 2 shown]
	v_fma_f64 v[12:13], v[12:13], 2.0, -v[16:17]
	v_fma_f64 v[14:15], v[14:15], 2.0, -v[18:19]
	;; [unrolled: 1-line block ×4, first 2 shown]
	v_fmac_f64_e32 v[218:219], v[54:55], v[182:183]
	v_fmac_f64_e32 v[222:223], v[50:51], v[170:171]
	v_add_f64 v[52:53], v[12:13], -v[24:25]
	v_add_f64 v[54:55], v[14:15], -v[26:27]
	;; [unrolled: 1-line block ×3, first 2 shown]
	v_add_f64 v[50:51], v[18:19], v[20:21]
	v_fma_f64 v[60:61], v[12:13], 2.0, -v[52:53]
	v_fma_f64 v[62:63], v[14:15], 2.0, -v[54:55]
	v_fma_f64 v[56:57], v[16:17], 2.0, -v[48:49]
	v_fma_f64 v[58:59], v[18:19], 2.0, -v[50:51]
	v_add_f64 v[12:13], v[8:9], -v[220:221]
	v_add_f64 v[14:15], v[10:11], -v[222:223]
	;; [unrolled: 1-line block ×4, first 2 shown]
	v_fma_f64 v[8:9], v[8:9], 2.0, -v[12:13]
	v_fma_f64 v[10:11], v[10:11], 2.0, -v[14:15]
	;; [unrolled: 1-line block ×4, first 2 shown]
	v_fmac_f64_e32 v[88:89], v[42:43], v[194:195]
	v_fmac_f64_e32 v[228:229], v[38:39], v[178:179]
	;; [unrolled: 1-line block ×3, first 2 shown]
	v_add_f64 v[36:37], v[8:9], -v[20:21]
	v_add_f64 v[38:39], v[10:11], -v[22:23]
	v_add_f64 v[32:33], v[12:13], -v[18:19]
	v_add_f64 v[34:35], v[14:15], v[16:17]
	v_fma_f64 v[44:45], v[8:9], 2.0, -v[36:37]
	v_fma_f64 v[46:47], v[10:11], 2.0, -v[38:39]
	;; [unrolled: 1-line block ×4, first 2 shown]
	v_add_f64 v[12:13], v[4:5], -v[226:227]
	v_add_f64 v[14:15], v[6:7], -v[228:229]
	;; [unrolled: 1-line block ×4, first 2 shown]
	v_fma_f64 v[4:5], v[4:5], 2.0, -v[12:13]
	v_fma_f64 v[6:7], v[6:7], 2.0, -v[14:15]
	;; [unrolled: 1-line block ×4, first 2 shown]
	v_add_f64 v[8:9], v[12:13], -v[8:9]
	v_add_f64 v[10:11], v[14:15], v[10:11]
	v_add_f64 v[20:21], v[4:5], -v[16:17]
	v_add_f64 v[22:23], v[6:7], -v[18:19]
	v_fma_f64 v[24:25], v[12:13], 2.0, -v[8:9]
	v_fma_f64 v[26:27], v[14:15], 2.0, -v[10:11]
	v_add_f64 v[12:13], v[0:1], -v[240:241]
	v_add_f64 v[14:15], v[2:3], -v[248:249]
	;; [unrolled: 1-line block ×4, first 2 shown]
	v_fma_f64 v[28:29], v[4:5], 2.0, -v[20:21]
	v_fma_f64 v[30:31], v[6:7], 2.0, -v[22:23]
	;; [unrolled: 1-line block ×6, first 2 shown]
	ds_write_b128 v107, v[210:213]
	ds_write_b128 v107, v[206:209] offset:640
	ds_write_b128 v107, v[64:67] offset:1280
	;; [unrolled: 1-line block ×7, first 2 shown]
	v_mov_b32_e32 v48, 0xa0
	v_add_f64 v[4:5], v[0:1], -v[4:5]
	v_add_f64 v[6:7], v[2:3], -v[6:7]
	v_cndmask_b32_e32 v48, 0, v48, vcc
	v_fma_f64 v[16:17], v[0:1], 2.0, -v[4:5]
	v_fma_f64 v[18:19], v[2:3], 2.0, -v[6:7]
	v_add_f64 v[0:1], v[12:13], -v[70:71]
	v_add_f64 v[2:3], v[14:15], v[68:69]
	v_add_u32_e32 v48, v48, v91
	v_fma_f64 v[12:13], v[12:13], 2.0, -v[0:1]
	v_fma_f64 v[14:15], v[14:15], 2.0, -v[2:3]
	v_add_lshl_u32 v105, v234, v48, 4
	ds_write_b128 v105, v[44:47]
	ds_write_b128 v105, v[40:43] offset:640
	ds_write_b128 v105, v[36:39] offset:1280
	;; [unrolled: 1-line block ×11, first 2 shown]
	s_waitcnt lgkmcnt(0)
	; wave barrier
	s_waitcnt lgkmcnt(0)
	ds_read_b128 v[36:39], v107
	ds_read_b128 v[74:77], v107 offset:2560
	ds_read_b128 v[32:35], v107 offset:256
	;; [unrolled: 1-line block ×19, first 2 shown]
	global_load_dwordx4 v[202:205], v242, s[6:7] offset:2400
	global_load_dwordx4 v[206:209], v242, s[6:7] offset:2656
	global_load_dwordx4 v[218:221], v242, s[6:7] offset:3424
	v_lshl_add_u64 v[68:69], s[6:7], 0, v[242:243]
	global_load_dwordx4 v[222:225], v242, s[6:7] offset:3680
	global_load_dwordx4 v[226:229], v242, s[6:7] offset:3936
	v_add_co_u32_e32 v68, vcc, s22, v68
	s_waitcnt vmcnt(4) lgkmcnt(14)
	v_mul_f64 v[70:71], v[76:77], v[204:205]
	v_fma_f64 v[72:73], v[74:75], v[202:203], -v[70:71]
	v_mul_f64 v[70:71], v[74:75], v[204:205]
	s_waitcnt vmcnt(3)
	v_mul_f64 v[74:75], v[212:213], v[208:209]
	v_fmac_f64_e32 v[70:71], v[76:77], v[202:203]
	v_fma_f64 v[76:77], v[210:211], v[206:207], -v[74:75]
	v_mul_f64 v[74:75], v[210:211], v[208:209]
	v_fmac_f64_e32 v[74:75], v[212:213], v[206:207]
	global_load_dwordx4 v[210:213], v242, s[6:7] offset:2912
	v_addc_co_u32_e32 v69, vcc, 0, v69, vcc
	global_load_dwordx4 v[230:233], v[68:69], off offset:96
	global_load_dwordx4 v[234:237], v[68:69], off offset:352
	global_load_dwordx4 v[238:241], v[68:69], off offset:608
	v_add_f64 v[68:69], v[32:33], -v[76:77]
	v_fma_f64 v[32:33], v[32:33], 2.0, -v[68:69]
	s_waitcnt vmcnt(3)
	v_mul_f64 v[78:79], v[216:217], v[212:213]
	v_mul_f64 v[82:83], v[214:215], v[212:213]
	v_fma_f64 v[84:85], v[214:215], v[210:211], -v[78:79]
	v_fmac_f64_e32 v[82:83], v[216:217], v[210:211]
	global_load_dwordx4 v[214:217], v242, s[6:7] offset:3168
	s_waitcnt vmcnt(1) lgkmcnt(0)
	v_mul_f64 v[88:89], v[40:41], v[240:241]
	v_fmac_f64_e32 v[88:89], v[42:43], v[238:239]
	s_waitcnt vmcnt(0)
	v_mul_f64 v[78:79], v[66:67], v[216:217]
	v_fma_f64 v[80:81], v[64:65], v[214:215], -v[78:79]
	v_mul_f64 v[78:79], v[64:65], v[216:217]
	v_mul_f64 v[64:65], v[62:63], v[220:221]
	v_fmac_f64_e32 v[78:79], v[66:67], v[214:215]
	v_fma_f64 v[66:67], v[60:61], v[218:219], -v[64:65]
	v_mul_f64 v[64:65], v[60:61], v[220:221]
	v_mul_f64 v[60:61], v[58:59], v[224:225]
	v_fmac_f64_e32 v[64:65], v[62:63], v[218:219]
	v_fma_f64 v[62:63], v[56:57], v[222:223], -v[60:61]
	v_mul_f64 v[60:61], v[56:57], v[224:225]
	v_mul_f64 v[56:57], v[54:55], v[228:229]
	v_fma_f64 v[56:57], v[52:53], v[226:227], -v[56:57]
	v_mul_f64 v[52:53], v[52:53], v[228:229]
	v_fmac_f64_e32 v[52:53], v[54:55], v[226:227]
	v_mul_f64 v[54:55], v[50:51], v[232:233]
	v_fmac_f64_e32 v[60:61], v[58:59], v[222:223]
	v_fma_f64 v[58:59], v[48:49], v[230:231], -v[54:55]
	v_mul_f64 v[54:55], v[48:49], v[232:233]
	v_mul_f64 v[48:49], v[46:47], v[236:237]
	v_fma_f64 v[48:49], v[44:45], v[234:235], -v[48:49]
	v_mul_f64 v[44:45], v[44:45], v[236:237]
	v_fmac_f64_e32 v[44:45], v[46:47], v[234:235]
	v_mul_f64 v[46:47], v[42:43], v[240:241]
	v_fmac_f64_e32 v[54:55], v[50:51], v[230:231]
	v_fma_f64 v[86:87], v[40:41], v[238:239], -v[46:47]
	v_add_f64 v[40:41], v[36:37], -v[72:73]
	v_add_f64 v[42:43], v[38:39], -v[70:71]
	;; [unrolled: 1-line block ×4, first 2 shown]
	v_fma_f64 v[36:37], v[36:37], 2.0, -v[40:41]
	v_fma_f64 v[38:39], v[38:39], 2.0, -v[42:43]
	v_add_f64 v[70:71], v[34:35], -v[74:75]
	v_add_f64 v[72:73], v[28:29], -v[84:85]
	;; [unrolled: 1-line block ×13, first 2 shown]
	v_fma_f64 v[4:5], v[4:5], 2.0, -v[46:47]
	v_fma_f64 v[6:7], v[6:7], 2.0, -v[48:49]
	v_add_f64 v[84:85], v[0:1], -v[86:87]
	v_add_f64 v[86:87], v[2:3], -v[88:89]
	v_fma_f64 v[34:35], v[34:35], 2.0, -v[70:71]
	v_fma_f64 v[28:29], v[28:29], 2.0, -v[72:73]
	;; [unrolled: 1-line block ×15, first 2 shown]
	ds_write_b128 v107, v[36:39]
	ds_write_b128 v106, v[40:43] offset:2560
	ds_write_b128 v107, v[32:35] offset:256
	;; [unrolled: 1-line block ×19, first 2 shown]
	s_waitcnt lgkmcnt(0)
	; wave barrier
	s_waitcnt lgkmcnt(0)
	global_load_dwordx4 v[4:7], v242, s[10:11]
	ds_read_b128 v[0:3], v107
	s_waitcnt vmcnt(0) lgkmcnt(0)
	v_mul_f64 v[8:9], v[2:3], v[6:7]
	v_mul_f64 v[10:11], v[0:1], v[6:7]
	v_fma_f64 v[8:9], v[0:1], v[4:5], -v[8:9]
	v_fmac_f64_e32 v[10:11], v[2:3], v[4:5]
	global_load_dwordx4 v[4:7], v242, s[10:11] offset:512
	ds_read_b128 v[0:3], v107 offset:512
	ds_write_b128 v107, v[8:11]
	s_waitcnt vmcnt(0) lgkmcnt(1)
	v_mul_f64 v[8:9], v[2:3], v[6:7]
	v_mul_f64 v[10:11], v[0:1], v[6:7]
	v_fma_f64 v[8:9], v[0:1], v[4:5], -v[8:9]
	v_fmac_f64_e32 v[10:11], v[2:3], v[4:5]
	global_load_dwordx4 v[4:7], v242, s[10:11] offset:1024
	ds_read_b128 v[0:3], v107 offset:1024
	ds_write_b128 v107, v[8:11] offset:512
	s_waitcnt vmcnt(0) lgkmcnt(1)
	v_mul_f64 v[8:9], v[2:3], v[6:7]
	v_mul_f64 v[10:11], v[0:1], v[6:7]
	v_fma_f64 v[8:9], v[0:1], v[4:5], -v[8:9]
	v_fmac_f64_e32 v[10:11], v[2:3], v[4:5]
	global_load_dwordx4 v[4:7], v242, s[10:11] offset:1536
	ds_read_b128 v[0:3], v107 offset:1536
	ds_write_b128 v107, v[8:11] offset:1024
	;; [unrolled: 8-line block ×4, first 2 shown]
	s_waitcnt vmcnt(0) lgkmcnt(1)
	v_mul_f64 v[8:9], v[2:3], v[6:7]
	v_mul_f64 v[10:11], v[0:1], v[6:7]
	v_fma_f64 v[8:9], v[0:1], v[4:5], -v[8:9]
	v_fmac_f64_e32 v[10:11], v[2:3], v[4:5]
	global_load_dwordx4 v[4:7], v242, s[10:11] offset:3072
	ds_write_b128 v107, v[8:11] offset:2560
	ds_read_b128 v[0:3], v106 offset:3072
	s_waitcnt vmcnt(0) lgkmcnt(0)
	v_mul_f64 v[8:9], v[2:3], v[6:7]
	v_mul_f64 v[10:11], v[0:1], v[6:7]
	v_fma_f64 v[8:9], v[0:1], v[4:5], -v[8:9]
	v_fmac_f64_e32 v[10:11], v[2:3], v[4:5]
	global_load_dwordx4 v[4:7], v242, s[10:11] offset:3584
	ds_read_b128 v[0:3], v106 offset:3584
	ds_write_b128 v106, v[8:11] offset:3072
	s_waitcnt vmcnt(0) lgkmcnt(1)
	v_mul_f64 v[8:9], v[2:3], v[6:7]
	v_mul_f64 v[10:11], v[0:1], v[6:7]
	v_fma_f64 v[8:9], v[0:1], v[4:5], -v[8:9]
	v_fmac_f64_e32 v[10:11], v[2:3], v[4:5]
	global_load_dwordx4 v[4:7], v246, s[10:11]
	ds_read_b128 v[0:3], v106 offset:4096
	ds_write_b128 v106, v[8:11] offset:3584
	s_waitcnt vmcnt(0) lgkmcnt(1)
	v_mul_f64 v[8:9], v[2:3], v[6:7]
	v_mul_f64 v[10:11], v[0:1], v[6:7]
	v_fma_f64 v[8:9], v[0:1], v[4:5], -v[8:9]
	v_fmac_f64_e32 v[10:11], v[2:3], v[4:5]
	global_load_dwordx4 v[4:7], v247, s[10:11]
	ds_read_b128 v[0:3], v106 offset:4608
	ds_write_b128 v106, v[8:11] offset:4096
	s_waitcnt vmcnt(0) lgkmcnt(1)
	v_mul_f64 v[8:9], v[2:3], v[6:7]
	v_mul_f64 v[10:11], v[0:1], v[6:7]
	v_fma_f64 v[8:9], v[0:1], v[4:5], -v[8:9]
	v_fmac_f64_e32 v[10:11], v[2:3], v[4:5]
	global_load_dwordx4 v[4:7], v242, s[10:11] offset:256
	ds_write_b128 v106, v[8:11] offset:4608
	ds_read_b128 v[0:3], v107 offset:256
	s_waitcnt vmcnt(0) lgkmcnt(0)
	v_mul_f64 v[8:9], v[2:3], v[6:7]
	v_mul_f64 v[10:11], v[0:1], v[6:7]
	v_fma_f64 v[8:9], v[0:1], v[4:5], -v[8:9]
	v_fmac_f64_e32 v[10:11], v[2:3], v[4:5]
	global_load_dwordx4 v[4:7], v242, s[10:11] offset:768
	ds_read_b128 v[0:3], v107 offset:768
	ds_write_b128 v107, v[8:11] offset:256
	s_waitcnt vmcnt(0) lgkmcnt(1)
	v_mul_f64 v[8:9], v[2:3], v[6:7]
	v_mul_f64 v[10:11], v[0:1], v[6:7]
	v_fma_f64 v[8:9], v[0:1], v[4:5], -v[8:9]
	v_fmac_f64_e32 v[10:11], v[2:3], v[4:5]
	global_load_dwordx4 v[4:7], v242, s[10:11] offset:1280
	ds_write_b128 v107, v[8:11] offset:768
	ds_read_b128 v[0:3], v106 offset:1280
	s_waitcnt vmcnt(0) lgkmcnt(0)
	v_mul_f64 v[8:9], v[2:3], v[6:7]
	v_mul_f64 v[10:11], v[0:1], v[6:7]
	v_fma_f64 v[8:9], v[0:1], v[4:5], -v[8:9]
	v_fmac_f64_e32 v[10:11], v[2:3], v[4:5]
	global_load_dwordx4 v[4:7], v242, s[10:11] offset:1792
	ds_read_b128 v[0:3], v106 offset:1792
	ds_write_b128 v106, v[8:11] offset:1280
	s_waitcnt vmcnt(0) lgkmcnt(1)
	v_mul_f64 v[8:9], v[2:3], v[6:7]
	v_mul_f64 v[10:11], v[0:1], v[6:7]
	v_fma_f64 v[8:9], v[0:1], v[4:5], -v[8:9]
	v_fmac_f64_e32 v[10:11], v[2:3], v[4:5]
	global_load_dwordx4 v[4:7], v242, s[10:11] offset:2304
	ds_read_b128 v[0:3], v106 offset:2304
	ds_write_b128 v106, v[8:11] offset:1792
	s_waitcnt vmcnt(0) lgkmcnt(1)
	v_mul_f64 v[8:9], v[2:3], v[6:7]
	v_mul_f64 v[10:11], v[0:1], v[6:7]
	v_fma_f64 v[8:9], v[0:1], v[4:5], -v[8:9]
	v_fmac_f64_e32 v[10:11], v[2:3], v[4:5]
	global_load_dwordx4 v[4:7], v242, s[10:11] offset:2816
	ds_write_b128 v106, v[8:11] offset:2304
	ds_read_b128 v[0:3], v107 offset:2816
	s_waitcnt vmcnt(0) lgkmcnt(0)
	v_mul_f64 v[8:9], v[2:3], v[6:7]
	v_mul_f64 v[10:11], v[0:1], v[6:7]
	v_fma_f64 v[8:9], v[0:1], v[4:5], -v[8:9]
	v_fmac_f64_e32 v[10:11], v[2:3], v[4:5]
	global_load_dwordx4 v[4:7], v242, s[10:11] offset:3328
	ds_write_b128 v107, v[8:11] offset:2816
	ds_read_b128 v[0:3], v106 offset:3328
	s_waitcnt vmcnt(0) lgkmcnt(0)
	v_mul_f64 v[8:9], v[2:3], v[6:7]
	v_mul_f64 v[10:11], v[0:1], v[6:7]
	v_fma_f64 v[8:9], v[0:1], v[4:5], -v[8:9]
	v_fmac_f64_e32 v[10:11], v[2:3], v[4:5]
	global_load_dwordx4 v[4:7], v242, s[10:11] offset:3840
	ds_read_b128 v[0:3], v106 offset:3840
	ds_write_b128 v106, v[8:11] offset:3328
	s_waitcnt vmcnt(0) lgkmcnt(1)
	v_mul_f64 v[8:9], v[2:3], v[6:7]
	v_mul_f64 v[10:11], v[0:1], v[6:7]
	v_fma_f64 v[8:9], v[0:1], v[4:5], -v[8:9]
	v_fmac_f64_e32 v[10:11], v[2:3], v[4:5]
	global_load_dwordx4 v[4:7], v245, s[10:11]
	ds_read_b128 v[0:3], v106 offset:4352
	ds_write_b128 v106, v[8:11] offset:3840
	s_waitcnt vmcnt(0) lgkmcnt(1)
	v_mul_f64 v[8:9], v[2:3], v[6:7]
	v_mul_f64 v[10:11], v[0:1], v[6:7]
	v_fma_f64 v[8:9], v[0:1], v[4:5], -v[8:9]
	v_fmac_f64_e32 v[10:11], v[2:3], v[4:5]
	global_load_dwordx4 v[4:7], v244, s[10:11]
	ds_read_b128 v[0:3], v106 offset:4864
	ds_write_b128 v106, v[8:11] offset:4352
	s_waitcnt vmcnt(0) lgkmcnt(1)
	v_mul_f64 v[8:9], v[2:3], v[6:7]
	v_mul_f64 v[10:11], v[0:1], v[6:7]
	v_fma_f64 v[8:9], v[0:1], v[4:5], -v[8:9]
	v_fmac_f64_e32 v[10:11], v[2:3], v[4:5]
	ds_write_b128 v106, v[8:11] offset:4864
	s_waitcnt lgkmcnt(0)
	; wave barrier
	s_waitcnt lgkmcnt(0)
	ds_read_b128 v[12:15], v107
	ds_read_b128 v[32:35], v107 offset:512
	ds_read_b128 v[60:63], v107 offset:1024
	ds_read_b128 v[36:39], v107 offset:1536
	ds_read_b128 v[72:75], v107 offset:2048
	ds_read_b128 v[40:43], v107 offset:2560
	ds_read_b128 v[76:79], v106 offset:3072
	ds_read_b128 v[44:47], v106 offset:3584
	ds_read_b128 v[80:83], v106 offset:4096
	ds_read_b128 v[48:51], v106 offset:4608
	ds_read_b128 v[242:245], v107 offset:256
	ds_read_b128 v[246:249], v107 offset:768
	ds_read_b128 v[28:31], v106 offset:1280
	ds_read_b128 v[250:253], v106 offset:1792
	ds_read_b128 v[20:23], v106 offset:2304
	ds_read_b128 v[90:93], v107 offset:2816
	ds_read_b128 v[16:19], v106 offset:3328
	ds_read_b128 v[56:59], v106 offset:3840
	ds_read_b128 v[6:9], v106 offset:4352
	ds_read_b128 v[52:55], v106 offset:4864
	s_waitcnt lgkmcnt(14)
	v_add_f64 v[4:5], v[12:13], v[60:61]
	v_add_f64 v[4:5], v[4:5], v[72:73]
	s_waitcnt lgkmcnt(13)
	v_add_f64 v[4:5], v[4:5], v[76:77]
	s_waitcnt lgkmcnt(11)
	v_add_f64 v[66:67], v[4:5], v[80:81]
	v_add_f64 v[4:5], v[72:73], v[76:77]
	v_fma_f64 v[68:69], -0.5, v[4:5], v[12:13]
	v_add_f64 v[4:5], v[62:63], -v[82:83]
	v_fma_f64 v[24:25], s[12:13], v[4:5], v[68:69]
	v_add_f64 v[26:27], v[74:75], -v[78:79]
	v_add_f64 v[10:11], v[60:61], -v[72:73]
	;; [unrolled: 1-line block ×3, first 2 shown]
	v_fmac_f64_e32 v[68:69], s[4:5], v[4:5]
	v_fmac_f64_e32 v[24:25], s[14:15], v[26:27]
	v_add_f64 v[10:11], v[10:11], v[64:65]
	v_fmac_f64_e32 v[68:69], s[2:3], v[26:27]
	v_fmac_f64_e32 v[24:25], s[8:9], v[10:11]
	;; [unrolled: 1-line block ×3, first 2 shown]
	v_add_f64 v[10:11], v[60:61], v[80:81]
	v_fmac_f64_e32 v[12:13], -0.5, v[10:11]
	v_fma_f64 v[10:11], s[4:5], v[26:27], v[12:13]
	v_fmac_f64_e32 v[12:13], s[12:13], v[26:27]
	v_fmac_f64_e32 v[10:11], s[14:15], v[4:5]
	;; [unrolled: 1-line block ×3, first 2 shown]
	v_add_f64 v[4:5], v[14:15], v[62:63]
	v_add_f64 v[4:5], v[4:5], v[74:75]
	v_add_f64 v[64:65], v[72:73], -v[60:61]
	v_add_f64 v[70:71], v[76:77], -v[80:81]
	v_add_f64 v[4:5], v[4:5], v[78:79]
	v_add_f64 v[64:65], v[64:65], v[70:71]
	;; [unrolled: 1-line block ×4, first 2 shown]
	v_fma_f64 v[4:5], -0.5, v[4:5], v[14:15]
	v_add_f64 v[60:61], v[60:61], -v[80:81]
	v_fmac_f64_e32 v[10:11], s[8:9], v[64:65]
	v_fmac_f64_e32 v[12:13], s[8:9], v[64:65]
	v_fma_f64 v[26:27], s[4:5], v[60:61], v[4:5]
	v_add_f64 v[72:73], v[72:73], -v[76:77]
	v_add_f64 v[64:65], v[62:63], -v[74:75]
	;; [unrolled: 1-line block ×3, first 2 shown]
	v_fmac_f64_e32 v[4:5], s[12:13], v[60:61]
	v_fmac_f64_e32 v[26:27], s[2:3], v[72:73]
	v_add_f64 v[64:65], v[64:65], v[76:77]
	v_fmac_f64_e32 v[4:5], s[14:15], v[72:73]
	v_fmac_f64_e32 v[26:27], s[8:9], v[64:65]
	;; [unrolled: 1-line block ×3, first 2 shown]
	v_add_f64 v[64:65], v[62:63], v[82:83]
	v_fmac_f64_e32 v[14:15], -0.5, v[64:65]
	v_fma_f64 v[64:65], s[12:13], v[72:73], v[14:15]
	v_fmac_f64_e32 v[14:15], s[4:5], v[72:73]
	v_fmac_f64_e32 v[64:65], s[2:3], v[60:61]
	;; [unrolled: 1-line block ×3, first 2 shown]
	v_add_f64 v[60:61], v[32:33], v[36:37]
	v_add_f64 v[62:63], v[74:75], -v[62:63]
	v_add_f64 v[74:75], v[78:79], -v[82:83]
	v_add_f64 v[60:61], v[60:61], v[40:41]
	v_add_f64 v[62:63], v[62:63], v[74:75]
	;; [unrolled: 1-line block ×3, first 2 shown]
	v_fmac_f64_e32 v[64:65], s[8:9], v[62:63]
	v_fmac_f64_e32 v[14:15], s[8:9], v[62:63]
	s_waitcnt lgkmcnt(10)
	v_add_f64 v[62:63], v[60:61], v[48:49]
	v_add_f64 v[60:61], v[40:41], v[44:45]
	v_fma_f64 v[72:73], -0.5, v[60:61], v[32:33]
	v_add_f64 v[60:61], v[38:39], -v[50:51]
	v_fma_f64 v[84:85], s[12:13], v[60:61], v[72:73]
	v_add_f64 v[74:75], v[42:43], -v[46:47]
	v_add_f64 v[76:77], v[36:37], -v[40:41]
	;; [unrolled: 1-line block ×3, first 2 shown]
	v_fmac_f64_e32 v[72:73], s[4:5], v[60:61]
	v_fmac_f64_e32 v[84:85], s[14:15], v[74:75]
	v_add_f64 v[76:77], v[76:77], v[78:79]
	v_fmac_f64_e32 v[72:73], s[2:3], v[74:75]
	v_fmac_f64_e32 v[84:85], s[8:9], v[76:77]
	;; [unrolled: 1-line block ×3, first 2 shown]
	v_add_f64 v[76:77], v[36:37], v[48:49]
	v_fmac_f64_e32 v[32:33], -0.5, v[76:77]
	v_fma_f64 v[88:89], s[4:5], v[74:75], v[32:33]
	v_add_f64 v[76:77], v[40:41], -v[36:37]
	v_add_f64 v[78:79], v[44:45], -v[48:49]
	v_fmac_f64_e32 v[32:33], s[12:13], v[74:75]
	v_fmac_f64_e32 v[88:89], s[14:15], v[60:61]
	v_add_f64 v[76:77], v[76:77], v[78:79]
	v_fmac_f64_e32 v[32:33], s[2:3], v[60:61]
	v_add_f64 v[74:75], v[42:43], v[46:47]
	v_fmac_f64_e32 v[88:89], s[8:9], v[76:77]
	v_fmac_f64_e32 v[32:33], s[8:9], v[76:77]
	v_fma_f64 v[76:77], -0.5, v[74:75], v[34:35]
	v_add_f64 v[36:37], v[36:37], -v[48:49]
	v_fma_f64 v[0:1], s[4:5], v[36:37], v[76:77]
	v_add_f64 v[2:3], v[40:41], -v[44:45]
	v_add_f64 v[40:41], v[38:39], -v[42:43]
	;; [unrolled: 1-line block ×3, first 2 shown]
	v_fmac_f64_e32 v[76:77], s[12:13], v[36:37]
	v_fmac_f64_e32 v[0:1], s[2:3], v[2:3]
	v_add_f64 v[40:41], v[40:41], v[44:45]
	v_fmac_f64_e32 v[76:77], s[14:15], v[2:3]
	v_fmac_f64_e32 v[0:1], s[8:9], v[40:41]
	v_fmac_f64_e32 v[76:77], s[8:9], v[40:41]
	v_add_f64 v[40:41], v[38:39], v[50:51]
	v_add_f64 v[60:61], v[34:35], v[38:39]
	v_fmac_f64_e32 v[34:35], -0.5, v[40:41]
	v_add_f64 v[60:61], v[60:61], v[42:43]
	v_fma_f64 v[40:41], s[12:13], v[2:3], v[34:35]
	v_add_f64 v[38:39], v[42:43], -v[38:39]
	v_add_f64 v[42:43], v[46:47], -v[50:51]
	v_fmac_f64_e32 v[40:41], s[2:3], v[36:37]
	v_add_f64 v[38:39], v[38:39], v[42:43]
	v_fmac_f64_e32 v[34:35], s[4:5], v[2:3]
	v_fmac_f64_e32 v[40:41], s[8:9], v[38:39]
	;; [unrolled: 1-line block ×3, first 2 shown]
	v_mul_f64 v[94:95], v[84:85], s[2:3]
	v_add_f64 v[60:61], v[60:61], v[46:47]
	v_fmac_f64_e32 v[34:35], s[8:9], v[38:39]
	v_mul_f64 v[44:45], v[0:1], s[14:15]
	v_mul_f64 v[46:47], v[76:77], s[14:15]
	v_fmac_f64_e32 v[94:95], s[20:21], v[0:1]
	v_mul_f64 v[0:1], v[40:41], s[8:9]
	v_mul_f64 v[38:39], v[40:41], s[12:13]
	;; [unrolled: 1-line block ×3, first 2 shown]
	v_fmac_f64_e32 v[46:47], s[16:17], v[72:73]
	v_fmac_f64_e32 v[0:1], s[4:5], v[88:89]
	v_mul_f64 v[34:35], v[34:35], s[18:19]
	v_fmac_f64_e32 v[38:39], s[8:9], v[88:89]
	v_fmac_f64_e32 v[42:43], s[18:19], v[32:33]
	v_add_f64 v[74:75], v[68:69], v[46:47]
	v_add_f64 v[88:89], v[64:65], v[0:1]
	v_fmac_f64_e32 v[34:35], s[4:5], v[32:33]
	v_add_f64 v[32:33], v[68:69], -v[46:47]
	v_add_f64 v[46:47], v[64:65], -v[0:1]
	s_waitcnt lgkmcnt(7)
	v_add_f64 v[0:1], v[242:243], v[28:29]
	s_waitcnt lgkmcnt(5)
	v_add_f64 v[0:1], v[0:1], v[20:21]
	v_fmac_f64_e32 v[44:45], s[20:21], v[84:85]
	s_waitcnt lgkmcnt(3)
	v_add_f64 v[0:1], v[0:1], v[16:17]
	v_add_f64 v[82:83], v[24:25], v[44:45]
	v_mul_f64 v[2:3], v[76:77], s[16:17]
	v_add_f64 v[40:41], v[24:25], -v[44:45]
	s_waitcnt lgkmcnt(1)
	v_add_f64 v[24:25], v[0:1], v[6:7]
	v_add_f64 v[0:1], v[20:21], v[16:17]
	;; [unrolled: 1-line block ×4, first 2 shown]
	v_fmac_f64_e32 v[2:3], s[2:3], v[72:73]
	v_add_f64 v[36:37], v[12:13], -v[42:43]
	v_add_f64 v[42:43], v[26:27], -v[94:95]
	v_fma_f64 v[26:27], -0.5, v[0:1], v[242:243]
	v_add_f64 v[0:1], v[30:31], -v[8:9]
	v_add_f64 v[96:97], v[66:67], v[62:63]
	v_add_f64 v[86:87], v[10:11], v[38:39]
	;; [unrolled: 1-line block ×4, first 2 shown]
	v_add_f64 v[48:49], v[66:67], -v[62:63]
	v_add_f64 v[44:45], v[10:11], -v[38:39]
	;; [unrolled: 1-line block ×4, first 2 shown]
	v_fma_f64 v[66:67], s[12:13], v[0:1], v[26:27]
	v_add_f64 v[2:3], v[22:23], -v[18:19]
	v_add_f64 v[4:5], v[28:29], -v[20:21]
	v_add_f64 v[10:11], v[6:7], -v[16:17]
	v_fmac_f64_e32 v[26:27], s[4:5], v[0:1]
	v_fmac_f64_e32 v[66:67], s[14:15], v[2:3]
	v_add_f64 v[4:5], v[4:5], v[10:11]
	v_fmac_f64_e32 v[26:27], s[2:3], v[2:3]
	v_fmac_f64_e32 v[66:67], s[8:9], v[4:5]
	;; [unrolled: 1-line block ×3, first 2 shown]
	v_add_f64 v[4:5], v[28:29], v[6:7]
	v_fmac_f64_e32 v[242:243], -0.5, v[4:5]
	v_fma_f64 v[4:5], s[4:5], v[2:3], v[242:243]
	v_fmac_f64_e32 v[242:243], s[12:13], v[2:3]
	v_fmac_f64_e32 v[4:5], s[14:15], v[0:1]
	;; [unrolled: 1-line block ×3, first 2 shown]
	v_add_f64 v[0:1], v[244:245], v[30:31]
	v_add_f64 v[0:1], v[0:1], v[22:23]
	;; [unrolled: 1-line block ×5, first 2 shown]
	v_add_f64 v[50:51], v[70:71], -v[60:61]
	v_add_f64 v[10:11], v[20:21], -v[28:29]
	v_add_f64 v[60:61], v[16:17], -v[6:7]
	v_add_f64 v[62:63], v[0:1], v[8:9]
	v_add_f64 v[0:1], v[22:23], v[18:19]
	;; [unrolled: 1-line block ×3, first 2 shown]
	v_fma_f64 v[60:61], -0.5, v[0:1], v[244:245]
	v_add_f64 v[0:1], v[28:29], -v[6:7]
	v_fmac_f64_e32 v[4:5], s[8:9], v[10:11]
	v_fmac_f64_e32 v[242:243], s[8:9], v[10:11]
	v_fma_f64 v[64:65], s[4:5], v[0:1], v[60:61]
	v_add_f64 v[2:3], v[20:21], -v[16:17]
	v_add_f64 v[6:7], v[30:31], -v[22:23]
	;; [unrolled: 1-line block ×3, first 2 shown]
	v_fmac_f64_e32 v[60:61], s[12:13], v[0:1]
	v_fmac_f64_e32 v[64:65], s[2:3], v[2:3]
	v_add_f64 v[6:7], v[6:7], v[10:11]
	v_fmac_f64_e32 v[60:61], s[14:15], v[2:3]
	v_fmac_f64_e32 v[64:65], s[8:9], v[6:7]
	;; [unrolled: 1-line block ×3, first 2 shown]
	v_add_f64 v[6:7], v[30:31], v[8:9]
	v_fmac_f64_e32 v[244:245], -0.5, v[6:7]
	v_fma_f64 v[68:69], s[12:13], v[2:3], v[244:245]
	v_fmac_f64_e32 v[244:245], s[4:5], v[2:3]
	v_fmac_f64_e32 v[68:69], s[2:3], v[0:1]
	;; [unrolled: 1-line block ×3, first 2 shown]
	v_add_f64 v[0:1], v[246:247], v[250:251]
	v_add_f64 v[6:7], v[22:23], -v[30:31]
	v_add_f64 v[8:9], v[18:19], -v[8:9]
	v_add_f64 v[0:1], v[0:1], v[90:91]
	v_add_f64 v[6:7], v[6:7], v[8:9]
	;; [unrolled: 1-line block ×3, first 2 shown]
	v_fmac_f64_e32 v[68:69], s[8:9], v[6:7]
	v_fmac_f64_e32 v[244:245], s[8:9], v[6:7]
	s_waitcnt lgkmcnt(0)
	v_add_f64 v[6:7], v[0:1], v[52:53]
	v_add_f64 v[0:1], v[90:91], v[56:57]
	v_fma_f64 v[18:19], -0.5, v[0:1], v[246:247]
	v_add_f64 v[0:1], v[252:253], -v[54:55]
	v_fma_f64 v[2:3], s[12:13], v[0:1], v[18:19]
	v_add_f64 v[8:9], v[92:93], -v[58:59]
	v_add_f64 v[10:11], v[250:251], -v[90:91]
	v_add_f64 v[16:17], v[52:53], -v[56:57]
	v_fmac_f64_e32 v[18:19], s[4:5], v[0:1]
	v_fmac_f64_e32 v[2:3], s[14:15], v[8:9]
	v_add_f64 v[10:11], v[10:11], v[16:17]
	v_fmac_f64_e32 v[18:19], s[2:3], v[8:9]
	v_fmac_f64_e32 v[2:3], s[8:9], v[10:11]
	;; [unrolled: 1-line block ×3, first 2 shown]
	v_add_f64 v[10:11], v[250:251], v[52:53]
	v_fmac_f64_e32 v[246:247], -0.5, v[10:11]
	v_fma_f64 v[22:23], s[4:5], v[8:9], v[246:247]
	v_fmac_f64_e32 v[246:247], s[12:13], v[8:9]
	v_fmac_f64_e32 v[22:23], s[14:15], v[0:1]
	;; [unrolled: 1-line block ×3, first 2 shown]
	v_add_f64 v[0:1], v[248:249], v[252:253]
	v_add_f64 v[0:1], v[0:1], v[92:93]
	;; [unrolled: 1-line block ×3, first 2 shown]
	v_add_f64 v[10:11], v[90:91], -v[250:251]
	v_add_f64 v[16:17], v[56:57], -v[52:53]
	v_add_f64 v[70:71], v[0:1], v[54:55]
	v_add_f64 v[0:1], v[92:93], v[58:59]
	;; [unrolled: 1-line block ×3, first 2 shown]
	v_fma_f64 v[72:73], -0.5, v[0:1], v[248:249]
	v_add_f64 v[0:1], v[250:251], -v[52:53]
	v_fmac_f64_e32 v[22:23], s[8:9], v[10:11]
	v_fmac_f64_e32 v[246:247], s[8:9], v[10:11]
	v_fma_f64 v[28:29], s[4:5], v[0:1], v[72:73]
	v_add_f64 v[8:9], v[90:91], -v[56:57]
	v_add_f64 v[10:11], v[252:253], -v[92:93]
	;; [unrolled: 1-line block ×3, first 2 shown]
	v_fmac_f64_e32 v[72:73], s[12:13], v[0:1]
	v_fmac_f64_e32 v[28:29], s[2:3], v[8:9]
	v_add_f64 v[10:11], v[10:11], v[16:17]
	v_fmac_f64_e32 v[72:73], s[14:15], v[8:9]
	v_fmac_f64_e32 v[28:29], s[8:9], v[10:11]
	;; [unrolled: 1-line block ×3, first 2 shown]
	v_add_f64 v[10:11], v[252:253], v[54:55]
	v_fmac_f64_e32 v[248:249], -0.5, v[10:11]
	v_fma_f64 v[30:31], s[12:13], v[8:9], v[248:249]
	v_add_f64 v[10:11], v[92:93], -v[252:253]
	v_add_f64 v[16:17], v[58:59], -v[54:55]
	v_fmac_f64_e32 v[248:249], s[4:5], v[8:9]
	v_fmac_f64_e32 v[30:31], s[2:3], v[0:1]
	v_add_f64 v[10:11], v[10:11], v[16:17]
	v_fmac_f64_e32 v[248:249], s[14:15], v[0:1]
	v_fmac_f64_e32 v[30:31], s[8:9], v[10:11]
	;; [unrolled: 1-line block ×3, first 2 shown]
	v_mul_f64 v[56:57], v[28:29], s[14:15]
	v_fmac_f64_e32 v[56:57], s[20:21], v[2:3]
	v_mul_f64 v[58:59], v[30:31], s[12:13]
	v_mul_f64 v[90:91], v[248:249], s[12:13]
	;; [unrolled: 1-line block ×7, first 2 shown]
	v_fmac_f64_e32 v[58:59], s[8:9], v[22:23]
	v_fmac_f64_e32 v[90:91], s[18:19], v[246:247]
	;; [unrolled: 1-line block ×7, first 2 shown]
	v_add_f64 v[8:9], v[24:25], v[6:7]
	v_add_f64 v[52:53], v[66:67], v[56:57]
	v_add_f64 v[12:13], v[4:5], v[58:59]
	v_add_f64 v[20:21], v[242:243], v[90:91]
	v_add_f64 v[16:17], v[26:27], v[92:93]
	v_add_f64 v[10:11], v[62:63], v[70:71]
	v_add_f64 v[54:55], v[64:65], v[94:95]
	v_add_f64 v[14:15], v[68:69], v[252:253]
	v_add_f64 v[22:23], v[244:245], v[0:1]
	v_add_f64 v[18:19], v[60:61], v[2:3]
	v_add_f64 v[246:247], v[24:25], -v[6:7]
	v_add_f64 v[28:29], v[66:67], -v[56:57]
	;; [unrolled: 1-line block ×10, first 2 shown]
	s_waitcnt lgkmcnt(0)
	; wave barrier
	ds_write_b128 v108, v[96:99]
	ds_write_b128 v108, v[82:85] offset:16
	ds_write_b128 v108, v[86:89] offset:32
	;; [unrolled: 1-line block ×9, first 2 shown]
	ds_write_b128 v254, v[8:11]
	ds_write_b128 v254, v[52:55] offset:16
	ds_write_b128 v254, v[12:15] offset:32
	;; [unrolled: 1-line block ×9, first 2 shown]
	v_accvgpr_read_b32 v82, a92
	v_accvgpr_read_b32 v84, a94
	;; [unrolled: 1-line block ×3, first 2 shown]
	s_waitcnt lgkmcnt(0)
	; wave barrier
	s_waitcnt lgkmcnt(0)
	ds_read_b128 v[16:19], v107
	ds_read_b128 v[64:67], v107 offset:1280
	ds_read_b128 v[68:71], v107 offset:2560
	;; [unrolled: 1-line block ×19, first 2 shown]
	v_accvgpr_read_b32 v83, a93
	s_waitcnt lgkmcnt(14)
	v_mul_f64 v[80:81], v[84:85], v[66:67]
	v_fmac_f64_e32 v[80:81], v[82:83], v[64:65]
	v_mul_f64 v[64:65], v[84:85], v[64:65]
	v_fma_f64 v[64:65], v[82:83], v[66:67], -v[64:65]
	v_accvgpr_read_b32 v82, a88
	v_accvgpr_read_b32 v84, a90
	;; [unrolled: 1-line block ×4, first 2 shown]
	v_mul_f64 v[66:67], v[84:85], v[70:71]
	v_fmac_f64_e32 v[66:67], v[82:83], v[68:69]
	v_mul_f64 v[68:69], v[84:85], v[68:69]
	v_fma_f64 v[68:69], v[82:83], v[70:71], -v[68:69]
	v_accvgpr_read_b32 v82, a84
	v_accvgpr_read_b32 v84, a86
	;; [unrolled: 1-line block ×3, first 2 shown]
	s_waitcnt lgkmcnt(9)
	v_mul_f64 v[98:99], v[112:113], v[50:51]
	v_accvgpr_read_b32 v83, a85
	v_mul_f64 v[70:71], v[84:85], v[74:75]
	v_fmac_f64_e32 v[98:99], v[110:111], v[48:49]
	v_mul_f64 v[48:49], v[112:113], v[48:49]
	v_fmac_f64_e32 v[70:71], v[82:83], v[72:73]
	v_mul_f64 v[72:73], v[84:85], v[72:73]
	v_fma_f64 v[48:49], v[110:111], v[50:51], -v[48:49]
	s_waitcnt lgkmcnt(8)
	v_mul_f64 v[50:51], v[102:103], v[46:47]
	v_fma_f64 v[72:73], v[82:83], v[74:75], -v[72:73]
	v_accvgpr_read_b32 v82, a104
	v_fmac_f64_e32 v[50:51], v[100:101], v[44:45]
	v_mul_f64 v[44:45], v[102:103], v[44:45]
	v_accvgpr_read_b32 v84, a106
	v_accvgpr_read_b32 v85, a107
	v_fma_f64 v[44:45], v[100:101], v[46:47], -v[44:45]
	s_waitcnt lgkmcnt(6)
	v_mul_f64 v[100:101], v[128:129], v[42:43]
	v_accvgpr_read_b32 v83, a105
	v_mul_f64 v[74:75], v[84:85], v[78:79]
	v_fmac_f64_e32 v[100:101], v[126:127], v[40:41]
	v_mul_f64 v[40:41], v[128:129], v[40:41]
	v_fmac_f64_e32 v[74:75], v[82:83], v[76:77]
	v_mul_f64 v[76:77], v[84:85], v[76:77]
	v_fma_f64 v[40:41], v[126:127], v[42:43], -v[40:41]
	s_waitcnt lgkmcnt(5)
	v_mul_f64 v[42:43], v[124:125], v[34:35]
	v_fma_f64 v[76:77], v[82:83], v[78:79], -v[76:77]
	v_accvgpr_read_b32 v82, a100
	v_fmac_f64_e32 v[42:43], v[122:123], v[32:33]
	v_mul_f64 v[32:33], v[124:125], v[32:33]
	v_accvgpr_read_b32 v84, a102
	v_accvgpr_read_b32 v85, a103
	v_fma_f64 v[32:33], v[122:123], v[34:35], -v[32:33]
	s_waitcnt lgkmcnt(4)
	v_mul_f64 v[34:35], v[120:121], v[22:23]
	v_accvgpr_read_b32 v83, a101
	v_mul_f64 v[78:79], v[84:85], v[62:63]
	v_fmac_f64_e32 v[34:35], v[118:119], v[20:21]
	v_mul_f64 v[20:21], v[120:121], v[20:21]
	v_fmac_f64_e32 v[78:79], v[82:83], v[60:61]
	v_mul_f64 v[60:61], v[84:85], v[60:61]
	v_mul_f64 v[94:95], v[116:117], v[54:55]
	v_fma_f64 v[102:103], v[118:119], v[22:23], -v[20:21]
	s_waitcnt lgkmcnt(2)
	v_mul_f64 v[20:21], v[160:161], v[36:37]
	v_fma_f64 v[60:61], v[82:83], v[62:63], -v[60:61]
	v_accvgpr_read_b32 v82, a96
	v_fmac_f64_e32 v[94:95], v[114:115], v[52:53]
	v_mul_f64 v[52:53], v[116:117], v[52:53]
	v_fma_f64 v[112:113], v[158:159], v[38:39], -v[20:21]
	s_waitcnt lgkmcnt(1)
	v_mul_f64 v[20:21], v[152:153], v[28:29]
	v_accvgpr_read_b32 v84, a98
	v_accvgpr_read_b32 v85, a99
	v_fma_f64 v[96:97], v[114:115], v[54:55], -v[52:53]
	v_mul_f64 v[114:115], v[152:153], v[30:31]
	v_fma_f64 v[116:117], v[150:151], v[30:31], -v[20:21]
	s_waitcnt lgkmcnt(0)
	v_mul_f64 v[118:119], v[144:145], v[26:27]
	v_mul_f64 v[20:21], v[144:145], v[24:25]
	v_accvgpr_read_b32 v83, a97
	v_mul_f64 v[62:63], v[84:85], v[58:59]
	v_mul_f64 v[110:111], v[160:161], v[38:39]
	v_fmac_f64_e32 v[114:115], v[150:151], v[28:29]
	v_fmac_f64_e32 v[118:119], v[142:143], v[24:25]
	v_fma_f64 v[24:25], v[142:143], v[26:27], -v[20:21]
	v_add_f64 v[20:21], v[16:17], -v[66:67]
	v_add_f64 v[22:23], v[18:19], -v[68:69]
	;; [unrolled: 1-line block ×4, first 2 shown]
	v_fmac_f64_e32 v[62:63], v[82:83], v[56:57]
	v_mul_f64 v[56:57], v[84:85], v[56:57]
	v_fmac_f64_e32 v[110:111], v[158:159], v[36:37]
	v_fma_f64 v[16:17], v[16:17], 2.0, -v[20:21]
	v_fma_f64 v[18:19], v[18:19], 2.0, -v[22:23]
	;; [unrolled: 1-line block ×4, first 2 shown]
	v_fma_f64 v[56:57], v[82:83], v[58:59], -v[56:57]
	v_add_f64 v[64:65], v[16:17], -v[30:31]
	v_add_f64 v[66:67], v[18:19], -v[36:37]
	v_add_f64 v[82:83], v[20:21], v[28:29]
	v_add_f64 v[84:85], v[22:23], -v[26:27]
	v_fma_f64 v[90:91], v[16:17], 2.0, -v[64:65]
	v_fma_f64 v[92:93], v[18:19], 2.0, -v[66:67]
	;; [unrolled: 1-line block ×4, first 2 shown]
	v_add_f64 v[16:17], v[12:13], -v[78:79]
	v_add_f64 v[18:19], v[14:15], -v[60:61]
	;; [unrolled: 1-line block ×4, first 2 shown]
	v_fma_f64 v[12:13], v[12:13], 2.0, -v[16:17]
	v_fma_f64 v[14:15], v[14:15], 2.0, -v[18:19]
	;; [unrolled: 1-line block ×4, first 2 shown]
	v_add_f64 v[52:53], v[12:13], -v[26:27]
	v_add_f64 v[54:55], v[14:15], -v[28:29]
	v_add_f64 v[28:29], v[16:17], v[22:23]
	v_add_f64 v[30:31], v[18:19], -v[20:21]
	v_fma_f64 v[60:61], v[12:13], 2.0, -v[52:53]
	v_fma_f64 v[62:63], v[14:15], 2.0, -v[54:55]
	;; [unrolled: 1-line block ×4, first 2 shown]
	v_add_f64 v[12:13], v[8:9], -v[98:99]
	v_add_f64 v[14:15], v[10:11], -v[48:49]
	;; [unrolled: 1-line block ×4, first 2 shown]
	v_fma_f64 v[8:9], v[8:9], 2.0, -v[12:13]
	v_fma_f64 v[10:11], v[10:11], 2.0, -v[14:15]
	;; [unrolled: 1-line block ×4, first 2 shown]
	v_add_f64 v[20:21], v[8:9], -v[20:21]
	v_add_f64 v[22:23], v[10:11], -v[22:23]
	v_fma_f64 v[48:49], v[8:9], 2.0, -v[20:21]
	v_fma_f64 v[50:51], v[10:11], 2.0, -v[22:23]
	v_add_f64 v[16:17], v[12:13], v[16:17]
	v_add_f64 v[18:19], v[14:15], -v[18:19]
	v_add_f64 v[26:27], v[0:1], -v[42:43]
	v_add_f64 v[32:33], v[2:3], -v[32:33]
	v_add_f64 v[10:11], v[100:101], -v[34:35]
	v_add_f64 v[8:9], v[40:41], -v[102:103]
	v_fma_f64 v[44:45], v[12:13], 2.0, -v[16:17]
	v_fma_f64 v[46:47], v[14:15], 2.0, -v[18:19]
	;; [unrolled: 1-line block ×6, first 2 shown]
	v_add_f64 v[8:9], v[26:27], v[8:9]
	v_add_f64 v[12:13], v[0:1], -v[12:13]
	v_add_f64 v[14:15], v[2:3], -v[14:15]
	v_fma_f64 v[36:37], v[26:27], 2.0, -v[8:9]
	v_add_f64 v[26:27], v[4:5], -v[114:115]
	v_add_f64 v[68:69], v[6:7], -v[116:117]
	;; [unrolled: 1-line block ×4, first 2 shown]
	v_fma_f64 v[40:41], v[0:1], 2.0, -v[12:13]
	v_fma_f64 v[42:43], v[2:3], 2.0, -v[14:15]
	;; [unrolled: 1-line block ×6, first 2 shown]
	v_add_f64 v[10:11], v[32:33], -v[10:11]
	v_add_f64 v[4:5], v[0:1], -v[4:5]
	;; [unrolled: 1-line block ×3, first 2 shown]
	s_waitcnt lgkmcnt(0)
	; wave barrier
	ds_write_b128 v104, v[90:93]
	ds_write_b128 v104, v[86:89] offset:160
	ds_write_b128 v104, v[64:67] offset:320
	;; [unrolled: 1-line block ×3, first 2 shown]
	v_accvgpr_read_b32 v64, a109
	v_fma_f64 v[38:39], v[32:33], 2.0, -v[10:11]
	v_fma_f64 v[32:33], v[0:1], 2.0, -v[4:5]
	;; [unrolled: 1-line block ×3, first 2 shown]
	v_add_f64 v[0:1], v[26:27], v[24:25]
	v_add_f64 v[2:3], v[68:69], -v[70:71]
	ds_write_b128 v64, v[60:63]
	ds_write_b128 v64, v[56:59] offset:160
	ds_write_b128 v64, v[52:55] offset:320
	;; [unrolled: 1-line block ×3, first 2 shown]
	v_accvgpr_read_b32 v28, a108
	v_fma_f64 v[24:25], v[26:27], 2.0, -v[0:1]
	v_fma_f64 v[26:27], v[68:69], 2.0, -v[2:3]
	ds_write_b128 v28, v[48:51]
	ds_write_b128 v28, v[44:47] offset:160
	ds_write_b128 v28, v[20:23] offset:320
	;; [unrolled: 1-line block ×3, first 2 shown]
	v_accvgpr_read_b32 v16, a110
	ds_write_b128 v16, v[40:43]
	ds_write_b128 v16, v[36:39] offset:160
	ds_write_b128 v16, v[12:15] offset:320
	;; [unrolled: 1-line block ×3, first 2 shown]
	ds_write_b128 v255, v[32:35]
	ds_write_b128 v255, v[24:27] offset:160
	ds_write_b128 v255, v[4:7] offset:320
	;; [unrolled: 1-line block ×3, first 2 shown]
	s_waitcnt lgkmcnt(0)
	; wave barrier
	s_waitcnt lgkmcnt(0)
	ds_read_b128 v[0:3], v107
	ds_read_b128 v[20:23], v107 offset:1280
	ds_read_b128 v[24:27], v107 offset:2560
	;; [unrolled: 1-line block ×19, first 2 shown]
	s_waitcnt lgkmcnt(14)
	v_mul_f64 v[80:81], v[156:157], v[22:23]
	v_fmac_f64_e32 v[80:81], v[154:155], v[20:21]
	v_mul_f64 v[20:21], v[156:157], v[20:21]
	v_fma_f64 v[20:21], v[154:155], v[22:23], -v[20:21]
	v_mul_f64 v[22:23], v[140:141], v[26:27]
	v_fmac_f64_e32 v[22:23], v[138:139], v[24:25]
	v_mul_f64 v[24:25], v[140:141], v[24:25]
	v_fma_f64 v[24:25], v[138:139], v[26:27], -v[24:25]
	;; [unrolled: 4-line block ×3, first 2 shown]
	v_mul_f64 v[82:83], v[164:165], v[34:35]
	v_mul_f64 v[30:31], v[164:165], v[32:33]
	v_fmac_f64_e32 v[82:83], v[162:163], v[32:33]
	v_fma_f64 v[32:33], v[162:163], v[34:35], -v[30:31]
	s_waitcnt lgkmcnt(13)
	v_mul_f64 v[34:35], v[148:149], v[38:39]
	v_mul_f64 v[30:31], v[148:149], v[36:37]
	v_fmac_f64_e32 v[34:35], v[146:147], v[36:37]
	v_fma_f64 v[36:37], v[146:147], v[38:39], -v[30:31]
	s_waitcnt lgkmcnt(12)
	;; [unrolled: 5-line block ×11, first 2 shown]
	v_mul_f64 v[74:75], v[188:189], v[78:79]
	v_mul_f64 v[30:31], v[188:189], v[76:77]
	v_fmac_f64_e32 v[74:75], v[186:187], v[76:77]
	v_fma_f64 v[76:77], v[186:187], v[78:79], -v[30:31]
	v_add_f64 v[30:31], v[0:1], -v[22:23]
	v_add_f64 v[42:43], v[2:3], -v[24:25]
	v_add_f64 v[26:27], v[80:81], -v[26:27]
	v_add_f64 v[28:29], v[20:21], -v[28:29]
	v_fma_f64 v[22:23], v[0:1], 2.0, -v[30:31]
	v_fma_f64 v[24:25], v[2:3], 2.0, -v[42:43]
	v_fma_f64 v[0:1], v[80:81], 2.0, -v[26:27]
	v_fma_f64 v[2:3], v[20:21], 2.0, -v[28:29]
	v_add_f64 v[0:1], v[22:23], -v[0:1]
	v_add_f64 v[2:3], v[24:25], -v[2:3]
	v_fma_f64 v[20:21], v[22:23], 2.0, -v[0:1]
	v_fma_f64 v[22:23], v[24:25], 2.0, -v[2:3]
	v_add_f64 v[24:25], v[30:31], v[28:29]
	v_add_f64 v[26:27], v[42:43], -v[26:27]
	v_fma_f64 v[28:29], v[30:31], 2.0, -v[24:25]
	v_fma_f64 v[30:31], v[42:43], 2.0, -v[26:27]
	v_add_f64 v[42:43], v[12:13], -v[34:35]
	v_add_f64 v[54:55], v[14:15], -v[36:37]
	v_add_f64 v[38:39], v[82:83], -v[38:39]
	v_add_f64 v[40:41], v[32:33], -v[40:41]
	v_fma_f64 v[34:35], v[12:13], 2.0, -v[42:43]
	v_fma_f64 v[36:37], v[14:15], 2.0, -v[54:55]
	v_fma_f64 v[12:13], v[82:83], 2.0, -v[38:39]
	v_fma_f64 v[14:15], v[32:33], 2.0, -v[40:41]
	v_add_f64 v[12:13], v[34:35], -v[12:13]
	v_add_f64 v[14:15], v[36:37], -v[14:15]
	v_fma_f64 v[32:33], v[34:35], 2.0, -v[12:13]
	v_fma_f64 v[34:35], v[36:37], 2.0, -v[14:15]
	v_add_f64 v[36:37], v[42:43], v[40:41]
	v_add_f64 v[38:39], v[54:55], -v[38:39]
	v_fma_f64 v[40:41], v[42:43], 2.0, -v[36:37]
	v_fma_f64 v[42:43], v[54:55], 2.0, -v[38:39]
	;; [unrolled: 16-line block ×5, first 2 shown]
	s_waitcnt lgkmcnt(0)
	; wave barrier
	ds_write_b128 v107, v[20:23]
	ds_write_b128 v107, v[28:31] offset:640
	ds_write_b128 v107, v[0:3] offset:1280
	ds_write_b128 v107, v[24:27] offset:1920
	ds_write_b128 v107, v[32:35] offset:256
	ds_write_b128 v107, v[40:43] offset:896
	ds_write_b128 v107, v[12:15] offset:1536
	ds_write_b128 v107, v[36:39] offset:2176
	ds_write_b128 v105, v[44:47]
	ds_write_b128 v105, v[52:55] offset:640
	ds_write_b128 v105, v[4:7] offset:1280
	;; [unrolled: 1-line block ×11, first 2 shown]
	s_waitcnt lgkmcnt(0)
	; wave barrier
	s_waitcnt lgkmcnt(0)
	ds_read_b128 v[0:3], v107
	ds_read_b128 v[4:7], v107 offset:2560
	ds_read_b128 v[8:11], v107 offset:256
	;; [unrolled: 1-line block ×19, first 2 shown]
	s_waitcnt lgkmcnt(14)
	v_mul_f64 v[80:81], v[204:205], v[6:7]
	v_fmac_f64_e32 v[80:81], v[202:203], v[4:5]
	v_mul_f64 v[4:5], v[204:205], v[4:5]
	v_fma_f64 v[6:7], v[202:203], v[6:7], -v[4:5]
	v_mul_f64 v[4:5], v[208:209], v[12:13]
	v_mul_f64 v[82:83], v[208:209], v[14:15]
	v_fma_f64 v[14:15], v[206:207], v[14:15], -v[4:5]
	v_mul_f64 v[4:5], v[212:213], v[20:21]
	v_mul_f64 v[84:85], v[212:213], v[22:23]
	v_fma_f64 v[22:23], v[210:211], v[22:23], -v[4:5]
	s_waitcnt lgkmcnt(12)
	v_mul_f64 v[4:5], v[216:217], v[28:29]
	v_mul_f64 v[86:87], v[216:217], v[30:31]
	v_fma_f64 v[30:31], v[214:215], v[30:31], -v[4:5]
	s_waitcnt lgkmcnt(10)
	;; [unrolled: 4-line block ×7, first 2 shown]
	v_mul_f64 v[98:99], v[240:241], v[78:79]
	v_mul_f64 v[4:5], v[240:241], v[76:77]
	v_fmac_f64_e32 v[82:83], v[206:207], v[12:13]
	v_fmac_f64_e32 v[84:85], v[210:211], v[20:21]
	;; [unrolled: 1-line block ×9, first 2 shown]
	v_fma_f64 v[78:79], v[238:239], v[78:79], -v[4:5]
	v_add_f64 v[4:5], v[0:1], -v[80:81]
	v_add_f64 v[6:7], v[2:3], -v[6:7]
	v_fma_f64 v[0:1], v[0:1], 2.0, -v[4:5]
	v_fma_f64 v[2:3], v[2:3], 2.0, -v[6:7]
	v_add_f64 v[12:13], v[8:9], -v[82:83]
	v_add_f64 v[14:15], v[10:11], -v[14:15]
	;; [unrolled: 1-line block ×18, first 2 shown]
	v_fma_f64 v[8:9], v[8:9], 2.0, -v[12:13]
	v_fma_f64 v[10:11], v[10:11], 2.0, -v[14:15]
	;; [unrolled: 1-line block ×18, first 2 shown]
	ds_write_b128 v107, v[0:3]
	ds_write_b128 v107, v[4:7] offset:2560
	ds_write_b128 v107, v[8:11] offset:256
	ds_write_b128 v107, v[12:15] offset:2816
	ds_write_b128 v107, v[16:19] offset:512
	ds_write_b128 v106, v[20:23] offset:3072
	ds_write_b128 v107, v[24:27] offset:768
	ds_write_b128 v106, v[28:31] offset:3328
	ds_write_b128 v107, v[32:35] offset:1024
	ds_write_b128 v106, v[36:39] offset:3584
	ds_write_b128 v106, v[40:43] offset:1280
	ds_write_b128 v106, v[44:47] offset:3840
	ds_write_b128 v107, v[48:51] offset:1536
	ds_write_b128 v106, v[52:55] offset:4096
	ds_write_b128 v106, v[56:59] offset:1792
	ds_write_b128 v106, v[60:63] offset:4352
	ds_write_b128 v107, v[64:67] offset:2048
	ds_write_b128 v106, v[68:71] offset:4608
	ds_write_b128 v106, v[72:75] offset:2304
	ds_write_b128 v106, v[76:79] offset:4864
	s_waitcnt lgkmcnt(0)
	; wave barrier
	s_waitcnt lgkmcnt(0)
	ds_read_b128 v[0:3], v107
	v_accvgpr_read_b32 v6, a8
	v_accvgpr_read_b32 v8, a10
	;; [unrolled: 1-line block ×4, first 2 shown]
	s_waitcnt lgkmcnt(0)
	v_mul_f64 v[4:5], v[8:9], v[2:3]
	v_fmac_f64_e32 v[4:5], v[6:7], v[0:1]
	s_mov_b32 s2, 0x9999999a
	v_mul_f64 v[0:1], v[8:9], v[0:1]
	s_mov_b32 s3, 0x3f699999
	v_fma_f64 v[0:1], v[6:7], v[2:3], -v[0:1]
	v_mul_f64 v[6:7], v[0:1], s[2:3]
	v_mad_u64_u32 v[0:1], s[4:5], s0, v109, 0
	v_mov_b32_e32 v2, v1
	v_mad_u64_u32 v[2:3], s[4:5], s1, v109, v[2:3]
	v_mov_b32_e32 v1, v2
	v_accvgpr_read_b32 v3, a1
	v_accvgpr_read_b32 v9, a3
	;; [unrolled: 1-line block ×4, first 2 shown]
	v_lshl_add_u64 v[2:3], v[8:9], 4, v[2:3]
	v_lshl_add_u64 v[8:9], v[0:1], 4, v[2:3]
	ds_read_b128 v[0:3], v107 offset:512
	v_accvgpr_read_b32 v10, a28
	v_mul_f64 v[4:5], v[4:5], s[2:3]
	v_accvgpr_read_b32 v12, a30
	v_accvgpr_read_b32 v13, a31
	global_store_dwordx4 v[8:9], v[4:7], off
	v_accvgpr_read_b32 v11, a29
	s_lshl_b64 s[4:5], s[0:1], 9
	s_waitcnt lgkmcnt(0)
	v_mul_f64 v[4:5], v[12:13], v[2:3]
	v_fmac_f64_e32 v[4:5], v[10:11], v[0:1]
	v_mul_f64 v[0:1], v[12:13], v[0:1]
	v_fma_f64 v[0:1], v[10:11], v[2:3], -v[0:1]
	v_mul_f64 v[6:7], v[0:1], s[2:3]
	ds_read_b128 v[0:3], v107 offset:1024
	v_accvgpr_read_b32 v10, a36
	v_mul_f64 v[4:5], v[4:5], s[2:3]
	v_lshl_add_u64 v[8:9], v[8:9], 0, s[4:5]
	v_accvgpr_read_b32 v12, a38
	v_accvgpr_read_b32 v13, a39
	global_store_dwordx4 v[8:9], v[4:7], off
	v_accvgpr_read_b32 v11, a37
	v_lshl_add_u64 v[8:9], v[8:9], 0, s[4:5]
	s_waitcnt lgkmcnt(0)
	v_mul_f64 v[4:5], v[12:13], v[2:3]
	v_fmac_f64_e32 v[4:5], v[10:11], v[0:1]
	v_mul_f64 v[0:1], v[12:13], v[0:1]
	v_fma_f64 v[0:1], v[10:11], v[2:3], -v[0:1]
	v_mul_f64 v[6:7], v[0:1], s[2:3]
	ds_read_b128 v[0:3], v107 offset:1536
	v_accvgpr_read_b32 v10, a48
	v_mul_f64 v[4:5], v[4:5], s[2:3]
	v_accvgpr_read_b32 v12, a50
	v_accvgpr_read_b32 v13, a51
	global_store_dwordx4 v[8:9], v[4:7], off
	v_accvgpr_read_b32 v11, a49
	v_lshl_add_u64 v[8:9], v[8:9], 0, s[4:5]
	s_waitcnt lgkmcnt(0)
	v_mul_f64 v[4:5], v[12:13], v[2:3]
	v_fmac_f64_e32 v[4:5], v[10:11], v[0:1]
	v_mul_f64 v[0:1], v[12:13], v[0:1]
	v_fma_f64 v[0:1], v[10:11], v[2:3], -v[0:1]
	v_mul_f64 v[6:7], v[0:1], s[2:3]
	ds_read_b128 v[0:3], v107 offset:2048
	v_accvgpr_read_b32 v10, a56
	v_mul_f64 v[4:5], v[4:5], s[2:3]
	;; [unrolled: 14-line block ×7, first 2 shown]
	v_accvgpr_read_b32 v12, a78
	v_accvgpr_read_b32 v13, a79
	global_store_dwordx4 v[8:9], v[4:7], off
	v_accvgpr_read_b32 v11, a77
	s_mulk_i32 s1, 0xef00
	s_waitcnt lgkmcnt(0)
	v_mul_f64 v[4:5], v[12:13], v[2:3]
	v_fmac_f64_e32 v[4:5], v[10:11], v[0:1]
	v_mul_f64 v[0:1], v[12:13], v[0:1]
	v_fma_f64 v[0:1], v[10:11], v[2:3], -v[0:1]
	v_mul_f64 v[4:5], v[4:5], s[2:3]
	v_mul_f64 v[6:7], v[0:1], s[2:3]
	v_lshl_add_u64 v[0:1], v[8:9], 0, s[4:5]
	global_store_dwordx4 v[0:1], v[4:7], off
	ds_read_b128 v[2:5], v107 offset:256
	v_accvgpr_read_b32 v8, a32
	v_accvgpr_read_b32 v10, a34
	;; [unrolled: 1-line block ×4, first 2 shown]
	s_waitcnt lgkmcnt(0)
	v_mul_f64 v[6:7], v[10:11], v[4:5]
	v_fmac_f64_e32 v[6:7], v[8:9], v[2:3]
	v_mul_f64 v[2:3], v[10:11], v[2:3]
	v_fma_f64 v[2:3], v[8:9], v[4:5], -v[2:3]
	v_mul_f64 v[8:9], v[2:3], s[2:3]
	v_mov_b32_e32 v2, 0xffffef00
	v_mad_u64_u32 v[10:11], s[6:7], s0, v2, v[0:1]
	ds_read_b128 v[0:3], v107 offset:768
	s_sub_i32 s0, s1, s0
	v_mul_f64 v[6:7], v[6:7], s[2:3]
	v_add_u32_e32 v11, s0, v11
	global_store_dwordx4 v[10:11], v[6:9], off
	s_nop 1
	v_accvgpr_read_b32 v6, a24
	v_accvgpr_read_b32 v8, a26
	;; [unrolled: 1-line block ×4, first 2 shown]
	s_waitcnt lgkmcnt(0)
	v_mul_f64 v[4:5], v[8:9], v[2:3]
	v_fmac_f64_e32 v[4:5], v[6:7], v[0:1]
	v_mul_f64 v[0:1], v[8:9], v[0:1]
	v_fma_f64 v[0:1], v[6:7], v[2:3], -v[0:1]
	v_mul_f64 v[6:7], v[0:1], s[2:3]
	ds_read_b128 v[0:3], v106 offset:1280
	v_lshl_add_u64 v[8:9], v[10:11], 0, s[4:5]
	v_accvgpr_read_b32 v10, a40
	v_mul_f64 v[4:5], v[4:5], s[2:3]
	v_accvgpr_read_b32 v12, a42
	v_accvgpr_read_b32 v13, a43
	global_store_dwordx4 v[8:9], v[4:7], off
	v_accvgpr_read_b32 v11, a41
	v_lshl_add_u64 v[8:9], v[8:9], 0, s[4:5]
	s_waitcnt lgkmcnt(0)
	v_mul_f64 v[4:5], v[12:13], v[2:3]
	v_fmac_f64_e32 v[4:5], v[10:11], v[0:1]
	v_mul_f64 v[0:1], v[12:13], v[0:1]
	v_fma_f64 v[0:1], v[10:11], v[2:3], -v[0:1]
	v_mul_f64 v[6:7], v[0:1], s[2:3]
	ds_read_b128 v[0:3], v106 offset:1792
	v_accvgpr_read_b32 v10, a44
	v_mul_f64 v[4:5], v[4:5], s[2:3]
	v_accvgpr_read_b32 v12, a46
	v_accvgpr_read_b32 v13, a47
	global_store_dwordx4 v[8:9], v[4:7], off
	v_accvgpr_read_b32 v11, a45
	v_lshl_add_u64 v[8:9], v[8:9], 0, s[4:5]
	s_waitcnt lgkmcnt(0)
	v_mul_f64 v[4:5], v[12:13], v[2:3]
	v_fmac_f64_e32 v[4:5], v[10:11], v[0:1]
	v_mul_f64 v[0:1], v[12:13], v[0:1]
	v_fma_f64 v[0:1], v[10:11], v[2:3], -v[0:1]
	v_mul_f64 v[6:7], v[0:1], s[2:3]
	ds_read_b128 v[0:3], v106 offset:2304
	;; [unrolled: 14-line block ×3, first 2 shown]
	v_accvgpr_read_b32 v10, a60
	v_mul_f64 v[4:5], v[4:5], s[2:3]
	v_accvgpr_read_b32 v12, a62
	v_accvgpr_read_b32 v13, a63
	global_store_dwordx4 v[8:9], v[4:7], off
	v_accvgpr_read_b32 v11, a61
	s_waitcnt lgkmcnt(0)
	v_mul_f64 v[4:5], v[12:13], v[2:3]
	v_fmac_f64_e32 v[4:5], v[10:11], v[0:1]
	v_mul_f64 v[0:1], v[12:13], v[0:1]
	v_fma_f64 v[0:1], v[10:11], v[2:3], -v[0:1]
	v_mul_f64 v[4:5], v[4:5], s[2:3]
	v_mul_f64 v[6:7], v[0:1], s[2:3]
	v_lshl_add_u64 v[0:1], v[8:9], 0, s[4:5]
	global_store_dwordx4 v[0:1], v[4:7], off
	ds_read_b128 v[2:5], v106 offset:3328
	v_accvgpr_read_b32 v8, a16
	v_accvgpr_read_b32 v10, a18
	;; [unrolled: 1-line block ×4, first 2 shown]
	s_waitcnt lgkmcnt(0)
	v_mul_f64 v[6:7], v[10:11], v[4:5]
	v_fmac_f64_e32 v[6:7], v[8:9], v[2:3]
	v_mul_f64 v[2:3], v[10:11], v[2:3]
	v_fma_f64 v[2:3], v[8:9], v[4:5], -v[2:3]
	v_mul_f64 v[8:9], v[2:3], s[2:3]
	v_lshl_add_u64 v[10:11], v[0:1], 0, s[4:5]
	ds_read_b128 v[0:3], v106 offset:3840
	v_mul_f64 v[6:7], v[6:7], s[2:3]
	global_store_dwordx4 v[10:11], v[6:9], off
	s_nop 1
	v_accvgpr_read_b32 v6, a12
	v_accvgpr_read_b32 v8, a14
	v_accvgpr_read_b32 v9, a15
	v_accvgpr_read_b32 v7, a13
	s_waitcnt lgkmcnt(0)
	v_mul_f64 v[4:5], v[8:9], v[2:3]
	v_fmac_f64_e32 v[4:5], v[6:7], v[0:1]
	v_mul_f64 v[0:1], v[8:9], v[0:1]
	v_fma_f64 v[0:1], v[6:7], v[2:3], -v[0:1]
	v_mul_f64 v[6:7], v[0:1], s[2:3]
	ds_read_b128 v[0:3], v106 offset:4352
	v_lshl_add_u64 v[8:9], v[10:11], 0, s[4:5]
	v_accvgpr_read_b32 v13, a7
	v_mul_f64 v[4:5], v[4:5], s[2:3]
	v_accvgpr_read_b32 v12, a6
	global_store_dwordx4 v[8:9], v[4:7], off
	v_accvgpr_read_b32 v11, a5
	v_accvgpr_read_b32 v10, a4
	s_waitcnt lgkmcnt(0)
	v_mul_f64 v[4:5], v[12:13], v[2:3]
	v_fmac_f64_e32 v[4:5], v[10:11], v[0:1]
	v_mul_f64 v[0:1], v[12:13], v[0:1]
	v_fma_f64 v[0:1], v[10:11], v[2:3], -v[0:1]
	v_mul_f64 v[6:7], v[0:1], s[2:3]
	ds_read_b128 v[0:3], v106 offset:4864
	v_accvgpr_read_b32 v10, a20
	v_mul_f64 v[4:5], v[4:5], s[2:3]
	v_lshl_add_u64 v[8:9], v[8:9], 0, s[4:5]
	v_accvgpr_read_b32 v12, a22
	v_accvgpr_read_b32 v13, a23
	global_store_dwordx4 v[8:9], v[4:7], off
	v_accvgpr_read_b32 v11, a21
	s_waitcnt lgkmcnt(0)
	v_mul_f64 v[4:5], v[12:13], v[2:3]
	v_fmac_f64_e32 v[4:5], v[10:11], v[0:1]
	v_mul_f64 v[0:1], v[12:13], v[0:1]
	v_fma_f64 v[0:1], v[10:11], v[2:3], -v[0:1]
	v_mul_f64 v[4:5], v[4:5], s[2:3]
	v_mul_f64 v[6:7], v[0:1], s[2:3]
	v_lshl_add_u64 v[0:1], v[8:9], 0, s[4:5]
	global_store_dwordx4 v[0:1], v[4:7], off
.LBB0_2:
	s_endpgm
	.section	.rodata,"a",@progbits
	.p2align	6, 0x0
	.amdhsa_kernel bluestein_single_back_len320_dim1_dp_op_CI_CI
		.amdhsa_group_segment_fixed_size 20480
		.amdhsa_private_segment_fixed_size 0
		.amdhsa_kernarg_size 104
		.amdhsa_user_sgpr_count 2
		.amdhsa_user_sgpr_dispatch_ptr 0
		.amdhsa_user_sgpr_queue_ptr 0
		.amdhsa_user_sgpr_kernarg_segment_ptr 1
		.amdhsa_user_sgpr_dispatch_id 0
		.amdhsa_user_sgpr_kernarg_preload_length 0
		.amdhsa_user_sgpr_kernarg_preload_offset 0
		.amdhsa_user_sgpr_private_segment_size 0
		.amdhsa_uses_dynamic_stack 0
		.amdhsa_enable_private_segment 0
		.amdhsa_system_sgpr_workgroup_id_x 1
		.amdhsa_system_sgpr_workgroup_id_y 0
		.amdhsa_system_sgpr_workgroup_id_z 0
		.amdhsa_system_sgpr_workgroup_info 0
		.amdhsa_system_vgpr_workitem_id 0
		.amdhsa_next_free_vgpr 367
		.amdhsa_next_free_sgpr 26
		.amdhsa_accum_offset 256
		.amdhsa_reserve_vcc 1
		.amdhsa_float_round_mode_32 0
		.amdhsa_float_round_mode_16_64 0
		.amdhsa_float_denorm_mode_32 3
		.amdhsa_float_denorm_mode_16_64 3
		.amdhsa_dx10_clamp 1
		.amdhsa_ieee_mode 1
		.amdhsa_fp16_overflow 0
		.amdhsa_tg_split 0
		.amdhsa_exception_fp_ieee_invalid_op 0
		.amdhsa_exception_fp_denorm_src 0
		.amdhsa_exception_fp_ieee_div_zero 0
		.amdhsa_exception_fp_ieee_overflow 0
		.amdhsa_exception_fp_ieee_underflow 0
		.amdhsa_exception_fp_ieee_inexact 0
		.amdhsa_exception_int_div_zero 0
	.end_amdhsa_kernel
	.text
.Lfunc_end0:
	.size	bluestein_single_back_len320_dim1_dp_op_CI_CI, .Lfunc_end0-bluestein_single_back_len320_dim1_dp_op_CI_CI
                                        ; -- End function
	.section	.AMDGPU.csdata,"",@progbits
; Kernel info:
; codeLenInByte = 19160
; NumSgprs: 32
; NumVgprs: 256
; NumAgprs: 111
; TotalNumVgprs: 367
; ScratchSize: 0
; MemoryBound: 0
; FloatMode: 240
; IeeeMode: 1
; LDSByteSize: 20480 bytes/workgroup (compile time only)
; SGPRBlocks: 3
; VGPRBlocks: 45
; NumSGPRsForWavesPerEU: 32
; NumVGPRsForWavesPerEU: 367
; AccumOffset: 256
; Occupancy: 1
; WaveLimiterHint : 1
; COMPUTE_PGM_RSRC2:SCRATCH_EN: 0
; COMPUTE_PGM_RSRC2:USER_SGPR: 2
; COMPUTE_PGM_RSRC2:TRAP_HANDLER: 0
; COMPUTE_PGM_RSRC2:TGID_X_EN: 1
; COMPUTE_PGM_RSRC2:TGID_Y_EN: 0
; COMPUTE_PGM_RSRC2:TGID_Z_EN: 0
; COMPUTE_PGM_RSRC2:TIDIG_COMP_CNT: 0
; COMPUTE_PGM_RSRC3_GFX90A:ACCUM_OFFSET: 63
; COMPUTE_PGM_RSRC3_GFX90A:TG_SPLIT: 0
	.text
	.p2alignl 6, 3212836864
	.fill 256, 4, 3212836864
	.type	__hip_cuid_8c70f79ceec031a5,@object ; @__hip_cuid_8c70f79ceec031a5
	.section	.bss,"aw",@nobits
	.globl	__hip_cuid_8c70f79ceec031a5
__hip_cuid_8c70f79ceec031a5:
	.byte	0                               ; 0x0
	.size	__hip_cuid_8c70f79ceec031a5, 1

	.ident	"AMD clang version 19.0.0git (https://github.com/RadeonOpenCompute/llvm-project roc-6.4.0 25133 c7fe45cf4b819c5991fe208aaa96edf142730f1d)"
	.section	".note.GNU-stack","",@progbits
	.addrsig
	.addrsig_sym __hip_cuid_8c70f79ceec031a5
	.amdgpu_metadata
---
amdhsa.kernels:
  - .agpr_count:     111
    .args:
      - .actual_access:  read_only
        .address_space:  global
        .offset:         0
        .size:           8
        .value_kind:     global_buffer
      - .actual_access:  read_only
        .address_space:  global
        .offset:         8
        .size:           8
        .value_kind:     global_buffer
      - .actual_access:  read_only
        .address_space:  global
        .offset:         16
        .size:           8
        .value_kind:     global_buffer
      - .actual_access:  read_only
        .address_space:  global
        .offset:         24
        .size:           8
        .value_kind:     global_buffer
      - .actual_access:  read_only
        .address_space:  global
        .offset:         32
        .size:           8
        .value_kind:     global_buffer
      - .offset:         40
        .size:           8
        .value_kind:     by_value
      - .address_space:  global
        .offset:         48
        .size:           8
        .value_kind:     global_buffer
      - .address_space:  global
        .offset:         56
        .size:           8
        .value_kind:     global_buffer
      - .address_space:  global
        .offset:         64
        .size:           8
        .value_kind:     global_buffer
      - .address_space:  global
        .offset:         72
        .size:           8
        .value_kind:     global_buffer
      - .offset:         80
        .size:           4
        .value_kind:     by_value
      - .address_space:  global
        .offset:         88
        .size:           8
        .value_kind:     global_buffer
      - .address_space:  global
        .offset:         96
        .size:           8
        .value_kind:     global_buffer
    .group_segment_fixed_size: 20480
    .kernarg_segment_align: 8
    .kernarg_segment_size: 104
    .language:       OpenCL C
    .language_version:
      - 2
      - 0
    .max_flat_workgroup_size: 64
    .name:           bluestein_single_back_len320_dim1_dp_op_CI_CI
    .private_segment_fixed_size: 0
    .sgpr_count:     32
    .sgpr_spill_count: 0
    .symbol:         bluestein_single_back_len320_dim1_dp_op_CI_CI.kd
    .uniform_work_group_size: 1
    .uses_dynamic_stack: false
    .vgpr_count:     367
    .vgpr_spill_count: 0
    .wavefront_size: 64
amdhsa.target:   amdgcn-amd-amdhsa--gfx950
amdhsa.version:
  - 1
  - 2
...

	.end_amdgpu_metadata
